;; amdgpu-corpus repo=ROCm/rocFFT kind=compiled arch=gfx950 opt=O3
	.text
	.amdgcn_target "amdgcn-amd-amdhsa--gfx950"
	.amdhsa_code_object_version 6
	.protected	bluestein_single_fwd_len297_dim1_sp_op_CI_CI ; -- Begin function bluestein_single_fwd_len297_dim1_sp_op_CI_CI
	.globl	bluestein_single_fwd_len297_dim1_sp_op_CI_CI
	.p2align	8
	.type	bluestein_single_fwd_len297_dim1_sp_op_CI_CI,@function
bluestein_single_fwd_len297_dim1_sp_op_CI_CI: ; @bluestein_single_fwd_len297_dim1_sp_op_CI_CI
; %bb.0:
	s_load_dwordx4 s[16:19], s[0:1], 0x28
	v_mul_u32_u24_e32 v1, 0x7c2, v0
	v_lshrrev_b32_e32 v2, 16, v1
	v_mad_u64_u32 v[58:59], s[2:3], s2, 7, v[2:3]
	v_mov_b32_e32 v73, 0
	v_mov_b32_e32 v59, v73
	s_waitcnt lgkmcnt(0)
	v_cmp_gt_u64_e32 vcc, s[16:17], v[58:59]
	s_and_saveexec_b64 s[2:3], vcc
	s_cbranch_execz .LBB0_10
; %bb.1:
	s_load_dwordx4 s[4:7], s[0:1], 0x18
	s_load_dwordx4 s[8:11], s[0:1], 0x0
	v_mul_lo_u16_e32 v1, 33, v2
	v_sub_u16_e32 v146, v0, v1
	v_mov_b32_e32 v4, s18
	s_waitcnt lgkmcnt(0)
	s_load_dwordx4 s[12:15], s[4:5], 0x0
	v_mov_b32_e32 v5, s19
	v_mov_b32_e32 v18, 0x108
	v_lshlrev_b32_e32 v72, 3, v146
	s_mov_b32 s16, 0x3f441b7d
	s_waitcnt lgkmcnt(0)
	v_mad_u64_u32 v[0:1], s[2:3], s14, v58, 0
	v_mov_b32_e32 v2, v1
	v_mad_u64_u32 v[2:3], s[2:3], s15, v58, v[2:3]
	v_mov_b32_e32 v1, v2
	;; [unrolled: 2-line block ×4, first 2 shown]
	v_lshl_add_u64 v[0:1], v[0:1], 3, v[4:5]
	v_lshl_add_u64 v[0:1], v[2:3], 3, v[0:1]
	global_load_dwordx2 v[2:3], v[0:1], off
	v_mad_u64_u32 v[0:1], s[2:3], s12, v18, v[0:1]
	s_mul_i32 s4, s13, 0x108
	v_add_u32_e32 v1, s4, v1
	v_mad_u64_u32 v[4:5], s[2:3], s12, v18, v[0:1]
	v_add_u32_e32 v5, s4, v5
	global_load_dwordx2 v[70:71], v72, s[8:9]
	global_load_dwordx2 v[68:69], v72, s[8:9] offset:264
	global_load_dwordx2 v[6:7], v[0:1], off
	global_load_dwordx2 v[8:9], v[4:5], off
	v_mad_u64_u32 v[0:1], s[2:3], s12, v18, v[4:5]
	v_add_u32_e32 v1, s4, v1
	v_mad_u64_u32 v[4:5], s[2:3], s12, v18, v[0:1]
	v_add_u32_e32 v5, s4, v5
	global_load_dwordx2 v[66:67], v72, s[8:9] offset:528
	global_load_dwordx2 v[62:63], v72, s[8:9] offset:792
	global_load_dwordx2 v[10:11], v[4:5], off
	v_mad_u64_u32 v[4:5], s[2:3], s12, v18, v[4:5]
	global_load_dwordx2 v[0:1], v[0:1], off
	v_add_u32_e32 v5, s4, v5
	global_load_dwordx2 v[64:65], v72, s[8:9] offset:1056
	global_load_dwordx2 v[12:13], v[4:5], off
	global_load_dwordx2 v[60:61], v72, s[8:9] offset:1320
	v_mad_u64_u32 v[4:5], s[2:3], s12, v18, v[4:5]
	v_add_u32_e32 v5, s4, v5
	global_load_dwordx2 v[14:15], v[4:5], off
	global_load_dwordx2 v[56:57], v72, s[8:9] offset:1584
	v_mad_u64_u32 v[4:5], s[2:3], s12, v18, v[4:5]
	v_add_u32_e32 v5, s4, v5
	;; [unrolled: 4-line block ×3, first 2 shown]
	global_load_dwordx2 v[52:53], v72, s[8:9] offset:2112
	global_load_dwordx2 v[18:19], v[4:5], off
	s_mov_b32 s2, 0x24924925
	v_mul_hi_u32 v4, v58, s2
	v_sub_u32_e32 v5, v58, v4
	v_lshrrev_b32_e32 v5, 1, v5
	v_add_u32_e32 v4, v5, v4
	v_lshrrev_b32_e32 v4, 2, v4
	v_mul_lo_u32 v4, v4, 7
	v_sub_u32_e32 v4, v58, v4
	v_mul_u32_u24_e32 v4, 0x129, v4
	v_lshlrev_b32_e32 v147, 3, v4
	v_add_u32_e32 v59, v72, v147
	s_load_dwordx4 s[4:7], s[6:7], 0x0
	s_mov_b32 s12, 0x3f248dbb
	s_mov_b32 s13, 0x3f7c1c5c
	;; [unrolled: 1-line block ×7, first 2 shown]
	v_cmp_gt_u16_e32 vcc, 27, v146
	s_waitcnt vmcnt(16)
	v_mul_f32_e32 v4, v3, v71
	v_mul_f32_e32 v5, v2, v71
	v_fmac_f32_e32 v4, v2, v70
	v_fma_f32 v5, v3, v70, -v5
	s_waitcnt vmcnt(14)
	v_mul_f32_e32 v2, v7, v69
	v_mul_f32_e32 v3, v6, v69
	v_fmac_f32_e32 v2, v6, v68
	v_fma_f32 v3, v7, v68, -v3
	ds_write2_b64 v59, v[4:5], v[2:3] offset1:33
	s_waitcnt vmcnt(12)
	v_mul_f32_e32 v2, v9, v67
	v_mul_f32_e32 v3, v8, v67
	v_fmac_f32_e32 v2, v8, v66
	v_fma_f32 v3, v9, v66, -v3
	s_waitcnt vmcnt(9)
	v_mul_f32_e32 v4, v1, v63
	v_mul_f32_e32 v5, v0, v63
	v_fmac_f32_e32 v4, v0, v62
	v_fma_f32 v5, v1, v62, -v5
	ds_write2_b64 v59, v[2:3], v[4:5] offset0:66 offset1:99
	s_waitcnt vmcnt(8)
	v_mul_f32_e32 v0, v11, v65
	v_mul_f32_e32 v1, v10, v65
	s_waitcnt vmcnt(6)
	v_mul_f32_e32 v2, v13, v61
	v_mul_f32_e32 v3, v12, v61
	v_fmac_f32_e32 v0, v10, v64
	v_fma_f32 v1, v11, v64, -v1
	v_fmac_f32_e32 v2, v12, v60
	v_fma_f32 v3, v13, v60, -v3
	ds_write2_b64 v59, v[0:1], v[2:3] offset0:132 offset1:165
	s_waitcnt vmcnt(4)
	v_mul_f32_e32 v0, v15, v57
	v_mul_f32_e32 v1, v14, v57
	s_waitcnt vmcnt(2)
	v_mul_f32_e32 v2, v17, v55
	v_mul_f32_e32 v3, v16, v55
	v_fmac_f32_e32 v0, v14, v56
	v_fma_f32 v1, v15, v56, -v1
	v_fmac_f32_e32 v2, v16, v54
	v_fma_f32 v3, v17, v54, -v3
	ds_write2_b64 v59, v[0:1], v[2:3] offset0:198 offset1:231
	s_waitcnt vmcnt(0)
	v_mul_f32_e32 v0, v19, v53
	v_mul_f32_e32 v1, v18, v53
	v_fmac_f32_e32 v0, v18, v52
	v_fma_f32 v1, v19, v52, -v1
	ds_write_b64 v59, v[0:1] offset:2112
	s_waitcnt lgkmcnt(0)
	s_barrier
	ds_read2_b64 v[0:3], v59 offset1:33
	ds_read2_b64 v[4:7], v59 offset0:66 offset1:99
	ds_read_b64 v[16:17], v59 offset:2112
	ds_read2_b64 v[8:11], v59 offset0:198 offset1:231
	v_mul_lo_u16_e32 v12, 9, v146
	v_lshl_add_u32 v148, v12, 3, v147
	ds_read2_b64 v[12:15], v59 offset0:132 offset1:165
	s_waitcnt lgkmcnt(2)
	v_pk_add_f32 v[18:19], v[2:3], v[16:17]
	s_waitcnt lgkmcnt(1)
	v_pk_add_f32 v[20:21], v[4:5], v[10:11]
	v_mov_b32_e32 v28, v3
	v_mov_b32_e32 v29, v4
	;; [unrolled: 1-line block ×8, first 2 shown]
	v_pk_add_f32 v[2:3], v[4:5], v[2:3] neg_lo:[0,1] neg_hi:[0,1]
	v_pk_add_f32 v[22:23], v[6:7], v[8:9]
	v_pk_add_f32 v[28:29], v[28:29], v[30:31] neg_lo:[0,1] neg_hi:[0,1]
	v_pk_add_f32 v[4:5], v[6:7], v[8:9] neg_lo:[0,1] neg_hi:[0,1]
	v_pk_mul_f32 v[6:7], v[2:3], s[14:15]
	v_pk_mul_f32 v[4:5], v[4:5], s[2:3] op_sel_hi:[1,0]
	v_pk_fma_f32 v[6:7], v[28:29], s[12:13], v[6:7]
	s_waitcnt lgkmcnt(0)
	v_pk_add_f32 v[8:9], v[12:13], v[14:15] neg_lo:[0,1] neg_hi:[0,1]
	s_mov_b32 s14, 0x3eaf1d44
	v_pk_add_f32 v[6:7], v[4:5], v[6:7] op_sel:[1,0] op_sel_hi:[0,1]
	v_pk_mul_f32 v[10:11], v[8:9], s[14:15] op_sel_hi:[1,0]
	v_pk_add_f32 v[24:25], v[20:21], v[18:19]
	v_pk_add_f32 v[6:7], v[10:11], v[6:7] op_sel:[1,0] op_sel_hi:[0,1]
	v_pk_fma_f32 v[10:11], v[18:19], s[16:17], v[0:1] op_sel_hi:[1,0,1]
	v_pk_add_f32 v[26:27], v[22:23], v[24:25]
	v_pk_fma_f32 v[10:11], v[20:21], s[18:19], v[10:11] op_sel_hi:[1,0,1]
	v_pk_add_f32 v[26:27], v[12:13], v[26:27]
	v_pk_fma_f32 v[10:11], v[22:23], 0.5, v[10:11] op_sel_hi:[1,0,1] neg_lo:[1,0,0] neg_hi:[1,0,0]
	v_pk_add_f32 v[12:13], v[12:13], v[14:15]
	v_pk_add_f32 v[26:27], v[14:15], v[26:27]
	v_pk_fma_f32 v[10:11], v[12:13], s[20:21], v[10:11] op_sel_hi:[1,0,1] neg_lo:[1,0,0] neg_hi:[1,0,0]
	v_pk_add_f32 v[26:27], v[26:27], v[0:1]
	v_pk_add_f32 v[14:15], v[10:11], v[6:7]
	v_pk_add_f32 v[10:11], v[10:11], v[6:7] neg_lo:[0,1] neg_hi:[0,1]
	s_nop 0
	v_mov_b32_e32 v10, v14
	s_barrier
	v_mov_b32_e32 v15, v11
	ds_write2_b64 v148, v[26:27], v[10:11] offset1:1
	v_pk_mul_f32 v[10:11], v[8:9], s[12:13] op_sel_hi:[1,0]
	v_mov_b32_e32 v16, v28
	v_mov_b32_e32 v17, v3
	s_mov_b32 s12, s13
	v_mov_b32_e32 v26, v2
	v_mov_b32_e32 v27, v29
	;; [unrolled: 1-line block ×6, first 2 shown]
	v_pk_fma_f32 v[2:3], v[12:13], s[16:17], v[0:1] op_sel_hi:[1,0,1]
	v_pk_fma_f32 v[10:11], v[16:17], s[12:13], v[10:11] op_sel:[0,0,1] op_sel_hi:[1,0,0] neg_lo:[0,0,1] neg_hi:[0,0,1]
	v_pk_fma_f32 v[2:3], v[18:19], s[18:19], v[2:3] op_sel_hi:[1,0,1]
	v_pk_add_f32 v[30:31], v[8:9], v[30:31]
	v_pk_add_f32 v[10:11], v[10:11], v[4:5] op_sel:[0,1] op_sel_hi:[1,0] neg_lo:[0,1] neg_hi:[0,1]
	v_pk_fma_f32 v[2:3], v[22:23], 0.5, v[2:3] op_sel_hi:[1,0,1] neg_lo:[1,0,0] neg_hi:[1,0,0]
	v_pk_add_f32 v[28:29], v[30:31], v[28:29] neg_lo:[0,1] neg_hi:[0,1]
	v_pk_add_f32 v[30:31], v[22:23], v[0:1]
	v_pk_add_f32 v[24:25], v[12:13], v[24:25]
	v_pk_fma_f32 v[10:11], v[26:27], s[14:15], v[10:11] op_sel_hi:[1,0,1]
	v_pk_fma_f32 v[2:3], v[20:21], s[20:21], v[2:3] op_sel_hi:[1,0,1] neg_lo:[1,0,0] neg_hi:[1,0,0]
	v_pk_fma_f32 v[24:25], v[24:25], 0.5, v[30:31] op_sel_hi:[1,0,1] neg_lo:[1,0,0] neg_hi:[1,0,0]
	v_pk_mul_f32 v[28:29], v[28:29], s[2:3] op_sel_hi:[1,0]
	v_pk_add_f32 v[30:31], v[2:3], v[10:11]
	v_pk_add_f32 v[2:3], v[2:3], v[10:11] neg_lo:[0,1] neg_hi:[0,1]
	v_pk_add_f32 v[32:33], v[24:25], v[28:29] op_sel:[0,1] op_sel_hi:[1,0]
	v_pk_add_f32 v[24:25], v[24:25], v[28:29] op_sel:[0,1] op_sel_hi:[1,0] neg_lo:[0,1] neg_hi:[0,1]
	v_mov_b32_e32 v2, v30
	v_mov_b32_e32 v24, v32
	v_mov_b32_e32 v31, v3
	ds_write2_b64 v148, v[2:3], v[24:25] offset0:2 offset1:3
	v_pk_fma_f32 v[0:1], v[20:21], s[16:17], v[0:1] op_sel_hi:[1,0,1]
	s_mov_b32 s16, 0xbf248dbb
	v_pk_mul_f32 v[2:3], v[8:9], s[12:13] op_sel_hi:[1,0]
	v_pk_fma_f32 v[0:1], v[12:13], s[18:19], v[0:1] op_sel_hi:[1,0,1]
	v_pk_fma_f32 v[2:3], v[26:27], s[16:17], v[2:3] op_sel:[0,0,1] op_sel_hi:[1,0,0] neg_lo:[0,0,1] neg_hi:[0,0,1]
	v_pk_fma_f32 v[0:1], v[22:23], 0.5, v[0:1] op_sel_hi:[1,0,1] neg_lo:[1,0,0] neg_hi:[1,0,0]
	v_pk_add_f32 v[2:3], v[4:5], v[2:3] op_sel:[1,0] op_sel_hi:[0,1]
	v_pk_fma_f32 v[2:3], v[16:17], s[14:15], v[2:3] op_sel_hi:[1,0,1]
	v_pk_fma_f32 v[0:1], v[18:19], s[20:21], v[0:1] op_sel_hi:[1,0,1] neg_lo:[1,0,0] neg_hi:[1,0,0]
	v_mov_b32_e32 v33, v25
	v_pk_add_f32 v[4:5], v[0:1], v[2:3]
	v_pk_add_f32 v[0:1], v[0:1], v[2:3] neg_lo:[0,1] neg_hi:[0,1]
	v_pk_fma_f32 v[8:9], v[28:29], 2.0, v[32:33] op_sel:[1,0,0] op_sel_hi:[0,0,1] neg_lo:[1,0,0] neg_hi:[1,0,0]
	v_mov_b32_e32 v5, v1
	ds_write_b64 v148, v[4:5] offset:32
	v_pk_fma_f32 v[0:1], v[2:3], 2.0, v[4:5] op_sel_hi:[1,0,1] neg_lo:[1,0,0] neg_hi:[1,0,0]
	v_pk_fma_f32 v[2:3], v[2:3], 2.0, v[4:5] op_sel_hi:[1,0,1]
	v_pk_fma_f32 v[4:5], v[28:29], 2.0, v[32:33] op_sel:[1,0,0] op_sel_hi:[0,0,1]
	v_mov_b32_e32 v1, v3
	v_mov_b32_e32 v9, v5
	ds_write2_b64 v148, v[0:1], v[8:9] offset0:5 offset1:6
	v_pk_fma_f32 v[0:1], v[10:11], 2.0, v[30:31] op_sel_hi:[1,0,1] neg_lo:[1,0,0] neg_hi:[1,0,0]
	v_pk_fma_f32 v[2:3], v[6:7], 2.0, v[14:15] op_sel_hi:[1,0,1] neg_lo:[1,0,0] neg_hi:[1,0,0]
	v_pk_fma_f32 v[4:5], v[10:11], 2.0, v[30:31] op_sel_hi:[1,0,1]
	v_pk_fma_f32 v[6:7], v[6:7], 2.0, v[14:15] op_sel_hi:[1,0,1]
	v_mov_b32_e32 v1, v5
	v_mov_b32_e32 v3, v7
	ds_write2_b64 v148, v[0:1], v[2:3] offset0:7 offset1:8
	v_mov_b32_e32 v0, 57
	v_mul_lo_u16_sdwa v1, v146, v0 dst_sel:DWORD dst_unused:UNUSED_PAD src0_sel:BYTE_0 src1_sel:DWORD
	v_lshrrev_b16_e32 v42, 9, v1
	v_mul_lo_u16_e32 v1, 9, v42
	v_sub_u16_e32 v43, v146, v1
	v_lshlrev_b16_e32 v1, 1, v43
	v_and_b32_e32 v1, 0xfe, v1
	v_add_u16_e32 v2, 33, v146
	v_lshlrev_b32_e32 v1, 3, v1
	v_mul_lo_u16_sdwa v3, v2, v0 dst_sel:DWORD dst_unused:UNUSED_PAD src0_sel:BYTE_0 src1_sel:DWORD
	s_waitcnt lgkmcnt(0)
	s_barrier
	v_lshrrev_b16_e32 v44, 9, v3
	global_load_dwordx4 v[8:11], v1, s[10:11]
	v_mul_lo_u16_e32 v1, 9, v44
	v_sub_u16_e32 v45, v2, v1
	v_mov_b32_e32 v1, 4
	v_lshlrev_b32_sdwa v2, v1, v45 dst_sel:DWORD dst_unused:UNUSED_PAD src0_sel:DWORD src1_sel:BYTE_0
	global_load_dwordx4 v[4:7], v2, s[10:11]
	v_add_u16_e32 v2, 0x42, v146
	v_mul_lo_u16_sdwa v0, v2, v0 dst_sel:DWORD dst_unused:UNUSED_PAD src0_sel:BYTE_0 src1_sel:DWORD
	v_lshrrev_b16_e32 v46, 9, v0
	v_mul_lo_u16_e32 v0, 9, v46
	v_sub_u16_e32 v47, v2, v0
	v_lshlrev_b32_sdwa v0, v1, v47 dst_sel:DWORD dst_unused:UNUSED_PAD src0_sel:DWORD src1_sel:BYTE_0
	global_load_dwordx4 v[0:3], v0, s[10:11]
	ds_read2_b64 v[12:15], v59 offset0:198 offset1:231
	s_waitcnt vmcnt(2)
	v_mov_b32_e32 v16, v11
	s_waitcnt lgkmcnt(0)
	v_pk_mul_f32 v[16:17], v[12:13], v[16:17] op_sel_hi:[1,0]
	s_waitcnt vmcnt(0)
	v_mov_b32_e32 v74, v0
	v_pk_fma_f32 v[20:21], v[12:13], v[10:11], v[16:17] op_sel:[0,0,1] op_sel_hi:[1,1,0] neg_lo:[0,0,1] neg_hi:[0,0,1]
	v_pk_fma_f32 v[22:23], v[12:13], v[10:11], v[16:17] op_sel:[0,0,1] op_sel_hi:[1,0,0]
	ds_read2_b64 v[16:19], v59 offset0:132 offset1:165
	v_pk_mul_f32 v[12:13], v[14:15], v[6:7] op_sel_hi:[1,0]
	v_mov_b32_e32 v22, v7
	v_pk_fma_f32 v[24:25], v[14:15], v[22:23], v[12:13] op_sel:[0,0,1] op_sel_hi:[1,0,0]
	v_pk_fma_f32 v[26:27], v[14:15], v[6:7], v[12:13] op_sel:[0,0,1] op_sel_hi:[1,1,0] neg_lo:[1,0,0] neg_hi:[1,0,0]
	s_waitcnt lgkmcnt(0)
	v_pk_mul_f32 v[12:13], v[16:17], v[4:5] op_sel_hi:[1,0]
	v_mov_b32_e32 v21, v23
	v_pk_fma_f32 v[28:29], v[16:17], v[4:5], v[12:13] op_sel:[0,0,1] op_sel_hi:[1,1,0] neg_lo:[1,0,0] neg_hi:[1,0,0]
	v_pk_fma_f32 v[30:31], v[16:17], v[4:5], v[12:13] op_sel:[0,1,1] op_sel_hi:[1,1,0]
	ds_read2_b64 v[12:15], v59 offset0:66 offset1:99
	v_pk_mul_f32 v[16:17], v[18:19], v[0:1] op_sel:[0,1]
	v_mov_b32_e32 v22, v29
	v_pk_fma_f32 v[34:35], v[18:19], v[74:75], v[16:17] op_sel:[0,0,1] op_sel_hi:[1,1,0] neg_lo:[0,0,1] neg_hi:[0,0,1]
	v_pk_fma_f32 v[32:33], v[18:19], v[0:1], v[16:17] op_sel:[0,0,1] op_sel_hi:[1,0,0]
	ds_read2_b64 v[16:19], v59 offset1:33
	s_waitcnt lgkmcnt(1)
	v_pk_mul_f32 v[36:37], v[14:15], v[8:9] op_sel:[0,1]
	v_mov_b32_e32 v23, v30
	v_pk_fma_f32 v[38:39], v[14:15], v[8:9], v[36:37] op_sel:[0,0,1] op_sel_hi:[1,1,0] neg_lo:[0,0,1] neg_hi:[0,0,1]
	v_pk_fma_f32 v[14:15], v[14:15], v[8:9], v[36:37] op_sel:[0,0,1] op_sel_hi:[1,0,0]
	v_mov_b32_e32 v36, v27
	v_mov_b32_e32 v37, v24
	;; [unrolled: 1-line block ×3, first 2 shown]
	v_pk_add_f32 v[40:41], v[22:23], v[36:37]
	v_pk_add_f32 v[14:15], v[38:39], v[20:21]
	s_waitcnt lgkmcnt(0)
	v_pk_fma_f32 v[40:41], v[40:41], 0.5, v[18:19] op_sel_hi:[1,0,1] neg_lo:[1,0,0] neg_hi:[1,0,0]
	v_pk_add_f32 v[18:19], v[18:19], v[22:23]
	v_pk_add_f32 v[22:23], v[38:39], v[20:21] neg_lo:[0,1] neg_hi:[0,1]
	v_pk_fma_f32 v[14:15], v[14:15], 0.5, v[16:17] op_sel_hi:[1,0,1] neg_lo:[1,0,0] neg_hi:[1,0,0]
	v_pk_mul_f32 v[22:23], v[22:23], s[2:3] op_sel_hi:[1,0]
	v_pk_add_f32 v[16:17], v[16:17], v[38:39]
	v_pk_add_f32 v[38:39], v[18:19], v[36:37]
	v_pk_add_f32 v[36:37], v[14:15], v[22:23] op_sel:[0,1] op_sel_hi:[1,0] neg_lo:[0,1] neg_hi:[0,1]
	v_pk_add_f32 v[78:79], v[22:23], v[14:15] op_sel:[1,0] op_sel_hi:[0,1]
	ds_read_b64 v[14:15], v59 offset:2112
	v_mad_legacy_u16 v0, v42, 27, v43
	v_mov_b32_e32 v31, v29
	v_mov_b32_e32 v25, v27
	;; [unrolled: 1-line block ×3, first 2 shown]
	v_and_b32_e32 v0, 0xff, v0
	v_pk_add_f32 v[18:19], v[30:31], v[24:25] neg_lo:[0,1] neg_hi:[0,1]
	v_mov_b32_e32 v35, v33
	s_waitcnt lgkmcnt(0)
	v_pk_mul_f32 v[22:23], v[14:15], v[76:77] op_sel_hi:[1,0]
	v_pk_add_f32 v[32:33], v[16:17], v[20:21]
	v_lshl_add_u32 v149, v0, 3, v147
	v_mov_b32_e32 v16, v78
	v_mov_b32_e32 v17, v37
	v_mul_u32_u24_e32 v0, 27, v44
	v_pk_fma_f32 v[24:25], v[14:15], v[2:3], v[22:23] op_sel:[0,0,1] op_sel_hi:[1,1,0] neg_lo:[0,0,1] neg_hi:[0,0,1]
	v_pk_fma_f32 v[14:15], v[14:15], v[2:3], v[22:23] op_sel:[0,0,1] op_sel_hi:[1,0,0]
	s_barrier
	ds_write2_b64 v149, v[32:33], v[16:17] offset1:9
	v_mov_b32_e32 v16, v36
	v_mov_b32_e32 v17, v79
	v_add_u32_sdwa v0, v0, v45 dst_sel:DWORD dst_unused:UNUSED_PAD src0_sel:DWORD src1_sel:BYTE_0
	v_pk_fma_f32 v[80:81], v[18:19], s[2:3], v[40:41] op_sel_hi:[1,0,1]
	v_pk_fma_f32 v[42:43], v[18:19], s[2:3], v[40:41] op_sel_hi:[1,0,1] neg_lo:[1,0,0] neg_hi:[1,0,0]
	v_mov_b32_e32 v25, v15
	ds_write_b64 v149, v[16:17] offset:144
	v_lshl_add_u32 v150, v0, 3, v147
	v_mov_b32_e32 v16, v80
	v_mov_b32_e32 v17, v43
	v_pk_add_f32 v[14:15], v[34:35], v[24:25]
	ds_write2_b64 v150, v[38:39], v[16:17] offset1:9
	v_mov_b32_e32 v16, v42
	v_mov_b32_e32 v17, v81
	v_pk_fma_f32 v[14:15], v[14:15], 0.5, v[12:13] op_sel_hi:[1,0,1] neg_lo:[1,0,0] neg_hi:[1,0,0]
	v_pk_add_f32 v[12:13], v[12:13], v[34:35]
	ds_write_b64 v150, v[16:17] offset:144
	v_pk_add_f32 v[16:17], v[34:35], v[24:25] neg_lo:[0,1] neg_hi:[0,1]
	v_pk_add_f32 v[44:45], v[12:13], v[24:25]
	v_pk_mul_f32 v[12:13], v[16:17], s[2:3] op_sel_hi:[1,0]
	s_load_dwordx2 s[2:3], s[0:1], 0x38
	v_mul_u32_u24_e32 v0, 27, v46
	v_add_u32_sdwa v0, v0, v47 dst_sel:DWORD dst_unused:UNUSED_PAD src0_sel:DWORD src1_sel:BYTE_0
	v_pk_add_f32 v[82:83], v[12:13], v[14:15] op_sel:[1,0] op_sel_hi:[0,1]
	v_pk_add_f32 v[48:49], v[14:15], v[12:13] op_sel:[0,1] op_sel_hi:[1,0] neg_lo:[0,1] neg_hi:[0,1]
	v_lshl_add_u32 v151, v0, 3, v147
	v_mov_b32_e32 v12, v82
	v_mov_b32_e32 v13, v49
	ds_write2_b64 v151, v[44:45], v[12:13] offset1:9
	v_mov_b32_e32 v12, v48
	v_mov_b32_e32 v13, v83
	v_cmp_lt_u16_e64 s[0:1], 26, v146
	ds_write_b64 v151, v[12:13] offset:144
	s_waitcnt lgkmcnt(0)
	s_barrier
	s_and_saveexec_b64 s[12:13], s[0:1]
	s_xor_b64 s[12:13], exec, s[12:13]
	s_or_saveexec_b64 s[12:13], s[12:13]
                                        ; implicit-def: $vgpr0
                                        ; implicit-def: $vgpr84
                                        ; implicit-def: $vgpr34
	s_xor_b64 exec, exec, s[12:13]
	s_cbranch_execz .LBB0_3
; %bb.2:
	ds_read2_b64 v[32:35], v59 offset1:27
	ds_read2_b64 v[44:47], v59 offset0:162 offset1:189
	ds_read2_b64 v[48:51], v59 offset0:216 offset1:243
	;; [unrolled: 1-line block ×4, first 2 shown]
	ds_read_b64 v[84:85], v59 offset:2160
	s_waitcnt lgkmcnt(4)
	v_mov_b32_e32 v82, v46
	s_waitcnt lgkmcnt(3)
	v_mov_b32_e32 v83, v49
	;; [unrolled: 2-line block ×3, first 2 shown]
	v_mov_b32_e32 v81, v43
	v_mov_b32_e32 v78, v34
	s_waitcnt lgkmcnt(1)
	v_mov_b32_e32 v79, v37
	v_mov_b32_e32 v49, v47
	;; [unrolled: 1-line block ×5, first 2 shown]
	s_waitcnt lgkmcnt(0)
	v_mov_b32_e32 v34, v85
.LBB0_3:
	s_or_b64 exec, exec, s[12:13]
	v_subrev_u32_e32 v3, 27, v146
	v_cndmask_b32_e32 v3, v3, v146, vcc
	v_mul_hi_i32_i24_e32 v13, 0x50, v3
	v_mul_i32_i24_e32 v12, 0x50, v3
	v_lshl_add_u64 v[40:41], s[10:11], 0, v[12:13]
	global_load_dwordx4 v[12:15], v[40:41], off offset:144
	global_load_dwordx4 v[20:23], v[40:41], off offset:160
	;; [unrolled: 1-line block ×5, first 2 shown]
	s_mov_b32 s28, 0xbf68dda4
	s_mov_b32 s10, 0x3ed4b147
	;; [unrolled: 1-line block ×13, first 2 shown]
	v_mov_b32_e32 v75, v74
	v_mov_b32_e32 v3, v2
	;; [unrolled: 1-line block ×3, first 2 shown]
	s_waitcnt vmcnt(4)
	v_pk_mul_f32 v[40:41], v[36:37], v[12:13] op_sel:[1,0]
	v_pk_mul_f32 v[46:47], v[78:79], v[14:15] op_sel:[1,0]
	s_waitcnt vmcnt(3)
	v_pk_mul_f32 v[86:87], v[38:39], v[20:21] op_sel:[1,0]
	s_waitcnt vmcnt(2)
	v_pk_mul_f32 v[92:93], v[44:45], v[18:19] op_sel:[1,0]
	v_pk_mul_f32 v[94:95], v[80:81], v[16:17] op_sel:[1,0]
	s_waitcnt vmcnt(1)
	v_pk_mul_f32 v[98:99], v[0:1], v[28:29] op_sel_hi:[0,1]
	s_waitcnt vmcnt(0)
	v_pk_mul_f32 v[100:101], v[82:83], v[26:27] op_sel:[1,0]
	v_pk_mul_f32 v[34:35], v[34:35], v[30:31] op_sel_hi:[0,1]
	v_pk_mul_f32 v[102:103], v[42:43], v[22:23] op_sel:[1,0]
	v_pk_mul_f32 v[104:105], v[48:49], v[24:25] op_sel:[1,0]
	v_pk_fma_f32 v[88:89], v[36:37], v[14:15], v[46:47] op_sel:[0,0,1] op_sel_hi:[1,1,0] neg_lo:[0,0,1] neg_hi:[0,0,1]
	v_pk_fma_f32 v[36:37], v[36:37], v[14:15], v[46:47] op_sel:[0,0,1] op_sel_hi:[0,1,0]
	v_pk_fma_f32 v[90:91], v[38:39], v[20:21], v[86:87] op_sel:[0,0,1] op_sel_hi:[1,1,0] neg_lo:[0,0,1] neg_hi:[0,0,1]
	v_pk_fma_f32 v[38:39], v[38:39], v[20:21], v[86:87] op_sel:[0,0,1] op_sel_hi:[0,1,0]
	;; [unrolled: 2-line block ×8, first 2 shown]
	v_mov_b32_e32 v101, v41
	v_mov_b32_e32 v51, v35
	;; [unrolled: 1-line block ×4, first 2 shown]
	v_pk_add_f32 v[116:117], v[100:101], v[50:51] neg_lo:[0,1] neg_hi:[0,1]
	v_mov_b32_e32 v91, v39
	v_mov_b32_e32 v93, v47
	v_pk_add_f32 v[46:47], v[100:101], v[50:51]
	v_pk_add_f32 v[118:119], v[88:89], v[94:95] neg_lo:[0,1] neg_hi:[0,1]
	v_pk_mul_f32 v[34:35], v[116:117], s[28:29] op_sel:[1,0] op_sel_hi:[0,0]
	v_mov_b32_e32 v97, v43
	v_pk_add_f32 v[42:43], v[88:89], v[94:95]
	v_pk_add_f32 v[120:121], v[90:91], v[92:93] neg_lo:[0,1] neg_hi:[0,1]
	v_pk_mul_f32 v[38:39], v[118:119], s[14:15] op_sel:[1,0] op_sel_hi:[0,0]
	v_pk_fma_f32 v[108:109], v[46:47], s[10:11], v[34:35] op_sel_hi:[1,0,1]
	v_pk_fma_f32 v[110:111], v[46:47], s[10:11], v[34:35] op_sel_hi:[1,0,1] neg_lo:[0,0,1] neg_hi:[0,0,1]
	v_pk_fma_f32 v[78:79], v[82:83], v[24:25], v[104:105] op_sel:[0,0,1] op_sel_hi:[1,1,0] neg_lo:[0,0,1] neg_hi:[0,0,1]
	v_pk_fma_f32 v[82:83], v[82:83], v[24:25], v[104:105] op_sel:[0,0,1] op_sel_hi:[0,1,0]
	v_mov_b32_e32 v87, v45
	v_pk_add_f32 v[40:41], v[90:91], v[92:93]
	v_pk_mul_f32 v[44:45], v[120:121], s[26:27] op_sel:[1,0] op_sel_hi:[0,0]
	v_pk_fma_f32 v[104:105], v[42:43], s[12:13], v[38:39] op_sel_hi:[1,0,1]
	v_pk_fma_f32 v[106:107], v[42:43], s[12:13], v[38:39] op_sel_hi:[1,0,1] neg_lo:[0,0,1] neg_hi:[0,0,1]
	v_mov_b32_e32 v34, v108
	v_mov_b32_e32 v35, v111
	v_pk_fma_f32 v[98:99], v[80:81], v[22:23], v[102:103] op_sel:[0,0,1] op_sel_hi:[1,1,0] neg_lo:[0,0,1] neg_hi:[0,0,1]
	v_pk_fma_f32 v[80:81], v[80:81], v[22:23], v[102:103] op_sel:[0,0,1] op_sel_hi:[0,1,0]
	v_pk_fma_f32 v[84:85], v[40:41], s[18:19], v[44:45] op_sel_hi:[1,0,1]
	v_pk_fma_f32 v[102:103], v[40:41], s[18:19], v[44:45] op_sel_hi:[1,0,1] neg_lo:[0,0,1] neg_hi:[0,0,1]
	v_mov_b32_e32 v38, v104
	v_mov_b32_e32 v39, v107
	v_pk_add_f32 v[34:35], v[32:33], v[34:35]
	v_pk_mul_f32 v[114:115], v[116:117], s[24:25] op_sel:[1,0] op_sel_hi:[0,0]
	v_mov_b32_e32 v44, v84
	v_mov_b32_e32 v45, v103
	v_pk_add_f32 v[34:35], v[38:39], v[34:35]
	v_pk_fma_f32 v[112:113], v[46:47], s[20:21], v[114:115] op_sel_hi:[1,0,1]
	v_pk_fma_f32 v[114:115], v[46:47], s[20:21], v[114:115] op_sel_hi:[1,0,1] neg_lo:[0,0,1] neg_hi:[0,0,1]
	v_pk_add_f32 v[34:35], v[44:45], v[34:35]
	v_pk_mul_f32 v[44:45], v[118:119], s[28:29] op_sel:[1,0] op_sel_hi:[0,0]
	v_mov_b32_e32 v38, v112
	v_mov_b32_e32 v39, v115
	v_pk_fma_f32 v[124:125], v[42:43], s[10:11], v[44:45] op_sel_hi:[1,0,1]
	v_pk_fma_f32 v[126:127], v[42:43], s[10:11], v[44:45] op_sel_hi:[1,0,1] neg_lo:[0,0,1] neg_hi:[0,0,1]
	v_pk_add_f32 v[38:39], v[32:33], v[38:39]
	v_mov_b32_e32 v44, v124
	v_mov_b32_e32 v45, v127
	v_pk_add_f32 v[38:39], v[44:45], v[38:39]
	v_pk_mul_f32 v[44:45], v[120:121], s[30:31] op_sel:[1,0] op_sel_hi:[0,0]
	v_mov_b32_e32 v99, v81
	v_mov_b32_e32 v79, v83
	v_pk_fma_f32 v[128:129], v[40:41], s[16:17], v[44:45] op_sel_hi:[1,0,1]
	v_pk_fma_f32 v[130:131], v[40:41], s[16:17], v[44:45] op_sel_hi:[1,0,1] neg_lo:[0,0,1] neg_hi:[0,0,1]
	v_pk_add_f32 v[122:123], v[98:99], v[78:79] neg_lo:[0,1] neg_hi:[0,1]
	v_mov_b32_e32 v44, v128
	v_mov_b32_e32 v45, v131
	v_pk_add_f32 v[36:37], v[98:99], v[78:79]
	v_pk_mul_f32 v[48:49], v[122:123], s[22:23] op_sel:[1,0] op_sel_hi:[0,0]
	v_pk_add_f32 v[38:39], v[44:45], v[38:39]
	v_pk_mul_f32 v[44:45], v[122:123], s[14:15] op_sel:[1,0] op_sel_hi:[0,0]
	v_pk_fma_f32 v[80:81], v[36:37], s[16:17], v[48:49] op_sel_hi:[1,0,1]
	v_pk_fma_f32 v[82:83], v[36:37], s[16:17], v[48:49] op_sel_hi:[1,0,1] neg_lo:[0,0,1] neg_hi:[0,0,1]
	v_pk_fma_f32 v[132:133], v[36:37], s[12:13], v[44:45] op_sel_hi:[1,0,1]
	v_pk_fma_f32 v[134:135], v[36:37], s[12:13], v[44:45] op_sel_hi:[1,0,1] neg_lo:[0,0,1] neg_hi:[0,0,1]
	v_mov_b32_e32 v48, v80
	v_mov_b32_e32 v49, v83
	;; [unrolled: 1-line block ×4, first 2 shown]
	v_pk_add_f32 v[144:145], v[96:97], v[86:87] neg_lo:[0,1] neg_hi:[0,1]
	v_pk_add_f32 v[34:35], v[48:49], v[34:35]
	v_pk_add_f32 v[38:39], v[44:45], v[38:39]
	;; [unrolled: 1-line block ×3, first 2 shown]
	v_pk_mul_f32 v[44:45], v[144:145], s[34:35] op_sel:[1,0] op_sel_hi:[0,0]
	v_pk_fma_f32 v[140:141], v[48:49], s[18:19], v[44:45] op_sel_hi:[1,0,1]
	v_pk_fma_f32 v[142:143], v[48:49], s[18:19], v[44:45] op_sel_hi:[1,0,1] neg_lo:[0,0,1] neg_hi:[0,0,1]
	v_mov_b32_e32 v44, v140
	v_mov_b32_e32 v45, v143
	v_pk_add_f32 v[44:45], v[44:45], v[38:39]
	v_pk_mul_f32 v[38:39], v[144:145], s[36:37] op_sel:[1,0] op_sel_hi:[0,0]
	v_pk_fma_f32 v[136:137], v[48:49], s[20:21], v[38:39] op_sel_hi:[1,0,1]
	v_pk_fma_f32 v[138:139], v[48:49], s[20:21], v[38:39] op_sel_hi:[1,0,1] neg_lo:[0,0,1] neg_hi:[0,0,1]
	v_mov_b32_e32 v38, v136
	v_mov_b32_e32 v39, v139
	;; [unrolled: 1-line block ×3, first 2 shown]
	v_pk_add_f32 v[34:35], v[38:39], v[34:35]
	v_lshl_add_u64 v[38:39], s[8:9], 0, v[72:73]
	s_and_saveexec_b64 s[28:29], vcc
	s_cbranch_execz .LBB0_5
; %bb.4:
	v_pk_add_f32 v[100:101], v[32:33], v[100:101]
	v_mov_b32_e32 v115, v113
	v_pk_add_f32 v[88:89], v[100:101], v[88:89]
	v_mov_b32_e32 v111, v109
	;; [unrolled: 2-line block ×9, first 2 shown]
	v_pk_add_f32 v[50:51], v[78:79], v[50:51]
	ds_write_b64 v59, v[50:51]
	v_pk_add_f32 v[50:51], v[32:33], v[114:115]
	v_pk_add_f32 v[78:79], v[32:33], v[110:111]
	;; [unrolled: 1-line block ×8, first 2 shown]
	v_mov_b32_e32 v139, v137
	v_mov_b32_e32 v152, v117
	;; [unrolled: 1-line block ×3, first 2 shown]
	v_lshl_add_u32 v73, v146, 3, v147
	v_pk_add_f32 v[50:51], v[142:143], v[50:51]
	v_pk_add_f32 v[78:79], v[138:139], v[78:79]
	v_mov_b32_e32 v116, v119
	v_mov_b32_e32 v117, v118
	ds_write2_b64 v73, v[50:51], v[78:79] offset0:27 offset1:54
	v_pk_mul_f32 v[50:51], v[152:153], s[30:31] op_sel_hi:[1,0]
	v_pk_mul_f32 v[82:83], v[116:117], s[26:27] op_sel_hi:[1,0]
	v_pk_fma_f32 v[78:79], v[46:47], s[16:17], v[50:51] op_sel_hi:[1,0,1] neg_lo:[0,0,1] neg_hi:[0,0,1]
	v_pk_fma_f32 v[50:51], v[46:47], s[16:17], v[50:51] op_sel_hi:[1,0,1]
	v_mov_b32_e32 v80, v78
	v_mov_b32_e32 v81, v51
	v_pk_fma_f32 v[84:85], v[42:43], s[18:19], v[82:83] op_sel_hi:[1,0,1] neg_lo:[0,0,1] neg_hi:[0,0,1]
	v_pk_fma_f32 v[82:83], v[42:43], s[18:19], v[82:83] op_sel_hi:[1,0,1]
	v_mov_b32_e32 v118, v121
	v_mov_b32_e32 v119, v120
	v_pk_add_f32 v[80:81], v[32:33], v[80:81]
	v_mov_b32_e32 v86, v84
	v_mov_b32_e32 v87, v83
	s_mov_b32 s26, 0x3f68dda4
	v_pk_add_f32 v[80:81], v[86:87], v[80:81]
	v_pk_mul_f32 v[86:87], v[118:119], s[26:27] op_sel_hi:[1,0]
	v_mov_b32_e32 v120, v123
	v_pk_fma_f32 v[88:89], v[40:41], s[10:11], v[86:87] op_sel_hi:[1,0,1] neg_lo:[0,0,1] neg_hi:[0,0,1]
	v_pk_fma_f32 v[86:87], v[40:41], s[10:11], v[86:87] op_sel_hi:[1,0,1]
	v_mov_b32_e32 v121, v122
	v_mov_b32_e32 v90, v88
	;; [unrolled: 1-line block ×3, first 2 shown]
	v_pk_add_f32 v[80:81], v[90:91], v[80:81]
	v_pk_mul_f32 v[90:91], v[120:121], s[24:25] op_sel_hi:[1,0]
	v_mov_b32_e32 v122, v145
	v_pk_fma_f32 v[92:93], v[36:37], s[20:21], v[90:91] op_sel_hi:[1,0,1] neg_lo:[0,0,1] neg_hi:[0,0,1]
	v_pk_fma_f32 v[90:91], v[36:37], s[20:21], v[90:91] op_sel_hi:[1,0,1]
	v_mov_b32_e32 v123, v144
	v_mov_b32_e32 v94, v92
	;; [unrolled: 1-line block ×3, first 2 shown]
	v_pk_add_f32 v[80:81], v[94:95], v[80:81]
	v_pk_mul_f32 v[94:95], v[122:123], s[14:15] op_sel_hi:[1,0]
	v_pk_mul_f32 v[104:105], v[116:117], s[22:23] op_sel_hi:[1,0]
	v_pk_fma_f32 v[96:97], v[48:49], s[12:13], v[94:95] op_sel_hi:[1,0,1] neg_lo:[0,0,1] neg_hi:[0,0,1]
	v_pk_fma_f32 v[94:95], v[48:49], s[12:13], v[94:95] op_sel_hi:[1,0,1]
	v_mov_b32_e32 v98, v96
	v_mov_b32_e32 v99, v95
	v_pk_add_f32 v[80:81], v[98:99], v[80:81]
	v_pk_mul_f32 v[98:99], v[152:153], s[14:15] op_sel_hi:[1,0]
	v_pk_fma_f32 v[106:107], v[42:43], s[16:17], v[104:105] op_sel_hi:[1,0,1] neg_lo:[0,0,1] neg_hi:[0,0,1]
	v_pk_fma_f32 v[100:101], v[46:47], s[12:13], v[98:99] op_sel_hi:[1,0,1] neg_lo:[0,0,1] neg_hi:[0,0,1]
	v_pk_fma_f32 v[98:99], v[46:47], s[12:13], v[98:99] op_sel_hi:[1,0,1]
	v_mov_b32_e32 v102, v100
	v_mov_b32_e32 v103, v99
	v_pk_fma_f32 v[104:105], v[42:43], s[16:17], v[104:105] op_sel_hi:[1,0,1]
	v_pk_add_f32 v[102:103], v[32:33], v[102:103]
	v_mov_b32_e32 v108, v106
	v_mov_b32_e32 v109, v105
	v_pk_add_f32 v[102:103], v[108:109], v[102:103]
	v_pk_mul_f32 v[108:109], v[118:119], s[24:25] op_sel_hi:[1,0]
	v_pk_mul_f32 v[116:117], v[116:117], s[36:37] op_sel_hi:[1,0]
	v_pk_fma_f32 v[110:111], v[40:41], s[20:21], v[108:109] op_sel_hi:[1,0,1] neg_lo:[0,0,1] neg_hi:[0,0,1]
	v_pk_fma_f32 v[108:109], v[40:41], s[20:21], v[108:109] op_sel_hi:[1,0,1]
	v_mov_b32_e32 v112, v110
	v_mov_b32_e32 v113, v109
	v_pk_add_f32 v[102:103], v[112:113], v[102:103]
	v_pk_mul_f32 v[112:113], v[120:121], s[34:35] op_sel_hi:[1,0]
	v_mov_b32_e32 v99, v101
	v_pk_fma_f32 v[114:115], v[36:37], s[18:19], v[112:113] op_sel_hi:[1,0,1] neg_lo:[0,0,1] neg_hi:[0,0,1]
	v_pk_fma_f32 v[112:113], v[36:37], s[18:19], v[112:113] op_sel_hi:[1,0,1]
	v_mov_b32_e32 v124, v114
	v_mov_b32_e32 v125, v113
	v_pk_add_f32 v[102:103], v[124:125], v[102:103]
	v_pk_mul_f32 v[124:125], v[122:123], s[26:27] op_sel_hi:[1,0]
	v_mov_b32_e32 v51, v79
	v_pk_fma_f32 v[126:127], v[48:49], s[10:11], v[124:125] op_sel_hi:[1,0,1] neg_lo:[0,0,1] neg_hi:[0,0,1]
	v_pk_fma_f32 v[124:125], v[48:49], s[10:11], v[124:125] op_sel_hi:[1,0,1]
	v_mov_b32_e32 v128, v126
	v_mov_b32_e32 v129, v125
	v_pk_add_f32 v[102:103], v[128:129], v[102:103]
	ds_write2_b64 v73, v[80:81], v[102:103] offset0:81 offset1:108
	v_pk_mul_f32 v[80:81], v[152:153], s[34:35] op_sel_hi:[1,0]
	v_pk_fma_f32 v[128:129], v[42:43], s[20:21], v[116:117] op_sel_hi:[1,0,1] neg_lo:[0,0,1] neg_hi:[0,0,1]
	v_pk_fma_f32 v[102:103], v[46:47], s[18:19], v[80:81] op_sel_hi:[1,0,1] neg_lo:[0,0,1] neg_hi:[0,0,1]
	v_pk_fma_f32 v[46:47], v[46:47], s[18:19], v[80:81] op_sel_hi:[1,0,1]
	v_mov_b32_e32 v80, v102
	v_mov_b32_e32 v81, v47
	v_pk_fma_f32 v[42:43], v[42:43], s[20:21], v[116:117] op_sel_hi:[1,0,1]
	v_pk_add_f32 v[80:81], v[32:33], v[80:81]
	v_mov_b32_e32 v116, v128
	v_mov_b32_e32 v117, v43
	v_pk_add_f32 v[80:81], v[116:117], v[80:81]
	v_pk_mul_f32 v[116:117], v[118:119], s[14:15] op_sel_hi:[1,0]
	v_mov_b32_e32 v47, v103
	v_pk_fma_f32 v[118:119], v[40:41], s[12:13], v[116:117] op_sel_hi:[1,0,1] neg_lo:[0,0,1] neg_hi:[0,0,1]
	v_pk_fma_f32 v[40:41], v[40:41], s[12:13], v[116:117] op_sel_hi:[1,0,1]
	v_mov_b32_e32 v116, v118
	v_mov_b32_e32 v117, v41
	v_pk_add_f32 v[80:81], v[116:117], v[80:81]
	v_pk_mul_f32 v[116:117], v[120:121], s[26:27] op_sel_hi:[1,0]
	v_pk_add_f32 v[46:47], v[32:33], v[46:47]
	v_pk_fma_f32 v[120:121], v[36:37], s[10:11], v[116:117] op_sel_hi:[1,0,1] neg_lo:[0,0,1] neg_hi:[0,0,1]
	v_pk_fma_f32 v[36:37], v[36:37], s[10:11], v[116:117] op_sel_hi:[1,0,1]
	v_mov_b32_e32 v116, v120
	v_mov_b32_e32 v117, v37
	;; [unrolled: 1-line block ×3, first 2 shown]
	v_pk_add_f32 v[80:81], v[116:117], v[80:81]
	v_pk_mul_f32 v[116:117], v[122:123], s[30:31] op_sel_hi:[1,0]
	v_pk_add_f32 v[42:43], v[42:43], v[46:47]
	v_mov_b32_e32 v41, v119
	v_pk_fma_f32 v[122:123], v[48:49], s[16:17], v[116:117] op_sel_hi:[1,0,1] neg_lo:[0,0,1] neg_hi:[0,0,1]
	v_pk_fma_f32 v[48:49], v[48:49], s[16:17], v[116:117] op_sel_hi:[1,0,1]
	v_pk_add_f32 v[40:41], v[40:41], v[42:43]
	v_mov_b32_e32 v37, v121
	v_mov_b32_e32 v116, v122
	;; [unrolled: 1-line block ×3, first 2 shown]
	v_pk_add_f32 v[36:37], v[36:37], v[40:41]
	v_mov_b32_e32 v49, v123
	v_pk_add_f32 v[80:81], v[116:117], v[80:81]
	v_pk_add_f32 v[36:37], v[48:49], v[36:37]
	ds_write2_b64 v73, v[80:81], v[36:37] offset0:135 offset1:162
	v_pk_add_f32 v[36:37], v[32:33], v[98:99]
	v_mov_b32_e32 v105, v107
	v_pk_add_f32 v[32:33], v[32:33], v[50:51]
	v_mov_b32_e32 v83, v85
	;; [unrolled: 2-line block ×8, first 2 shown]
	v_pk_add_f32 v[36:37], v[124:125], v[36:37]
	v_pk_add_f32 v[32:33], v[94:95], v[32:33]
	ds_write2_b64 v73, v[36:37], v[32:33] offset0:189 offset1:216
	v_add_u32_e32 v32, 0x400, v73
	ds_write2_b64 v32, v[34:35], v[44:45] offset0:115 offset1:142
.LBB0_5:
	s_or_b64 exec, exec, s[28:29]
	s_waitcnt lgkmcnt(0)
	s_barrier
	global_load_dwordx2 v[32:33], v[38:39], off offset:2376
	s_add_u32 s8, s8, 0x948
	s_addc_u32 s9, s9, 0
	global_load_dwordx2 v[50:51], v72, s[8:9] offset:264
	global_load_dwordx2 v[82:83], v72, s[8:9] offset:528
	;; [unrolled: 1-line block ×8, first 2 shown]
	ds_read2_b64 v[36:39], v59 offset1:33
	ds_read2_b64 v[40:43], v59 offset0:66 offset1:99
	ds_read2_b64 v[46:49], v59 offset0:132 offset1:165
	;; [unrolled: 1-line block ×3, first 2 shown]
	ds_read_b64 v[72:73], v59 offset:2112
	s_mov_b32 s10, 0x3f248dbb
	s_mov_b32 s11, 0x3f7c1c5c
	;; [unrolled: 1-line block ×8, first 2 shown]
	s_waitcnt vmcnt(5) lgkmcnt(3)
	v_mul_f32_e32 v98, v43, v85
	s_waitcnt vmcnt(4) lgkmcnt(2)
	v_mul_f32_e32 v99, v47, v87
	v_mul_f32_e32 v96, v37, v33
	;; [unrolled: 1-line block ×3, first 2 shown]
	v_fma_f32 v96, v36, v32, -v96
	v_fmac_f32_e32 v97, v37, v32
	v_mul_f32_e32 v32, v39, v51
	v_mul_f32_e32 v33, v38, v51
	;; [unrolled: 1-line block ×6, first 2 shown]
	s_waitcnt vmcnt(3)
	v_mul_f32_e32 v100, v49, v89
	v_mul_f32_e32 v85, v48, v89
	s_waitcnt vmcnt(2) lgkmcnt(1)
	v_mul_f32_e32 v101, v79, v91
	v_mul_f32_e32 v87, v78, v91
	s_waitcnt vmcnt(1)
	v_mul_f32_e32 v102, v81, v93
	v_mul_f32_e32 v89, v80, v93
	s_waitcnt vmcnt(0) lgkmcnt(0)
	v_mul_f32_e32 v93, v73, v95
	v_mul_f32_e32 v91, v72, v95
	v_fma_f32 v32, v38, v50, -v32
	v_fmac_f32_e32 v33, v39, v50
	v_fma_f32 v36, v40, v82, -v36
	v_fmac_f32_e32 v37, v41, v82
	;; [unrolled: 2-line block ×8, first 2 shown]
	ds_write2_b64 v59, v[96:97], v[32:33] offset1:33
	ds_write2_b64 v59, v[36:37], v[50:51] offset0:66 offset1:99
	ds_write2_b64 v59, v[82:83], v[84:85] offset0:132 offset1:165
	;; [unrolled: 1-line block ×3, first 2 shown]
	ds_write_b64 v59, v[90:91] offset:2112
	s_waitcnt lgkmcnt(0)
	s_barrier
	ds_read2_b64 v[36:39], v59 offset1:33
	ds_read2_b64 v[40:43], v59 offset0:66 offset1:99
	ds_read2_b64 v[46:49], v59 offset0:132 offset1:165
	ds_read_b64 v[32:33], v59 offset:2112
	ds_read2_b64 v[78:81], v59 offset0:198 offset1:231
	s_waitcnt lgkmcnt(4)
	v_mov_b32_e32 v84, v39
	s_waitcnt lgkmcnt(3)
	v_mov_b32_e32 v85, v40
	s_waitcnt lgkmcnt(0)
	v_pk_add_f32 v[50:51], v[38:39], v[32:33]
	v_pk_add_f32 v[72:73], v[40:41], v[80:81]
	v_mov_b32_e32 v40, v41
	v_mov_b32_e32 v41, v38
	;; [unrolled: 1-line block ×6, first 2 shown]
	v_pk_add_f32 v[38:39], v[40:41], v[38:39] neg_lo:[0,1] neg_hi:[0,1]
	v_pk_add_f32 v[82:83], v[42:43], v[78:79]
	v_pk_add_f32 v[32:33], v[42:43], v[78:79] neg_lo:[0,1] neg_hi:[0,1]
	v_pk_add_f32 v[78:79], v[84:85], v[86:87] neg_lo:[0,1] neg_hi:[0,1]
	v_pk_mul_f32 v[80:81], v[38:39], s[12:13]
	v_pk_mul_f32 v[32:33], v[32:33], s[8:9] op_sel_hi:[1,0]
	v_pk_fma_f32 v[80:81], v[78:79], s[10:11], v[80:81]
	v_pk_add_f32 v[84:85], v[46:47], v[48:49] neg_lo:[0,1] neg_hi:[0,1]
	s_mov_b32 s12, 0x3eaf1d44
	v_pk_add_f32 v[80:81], v[32:33], v[80:81] op_sel:[1,0] op_sel_hi:[0,1]
	v_pk_mul_f32 v[86:87], v[84:85], s[12:13] op_sel_hi:[1,0]
	v_pk_add_f32 v[42:43], v[72:73], v[50:51]
	v_pk_add_f32 v[80:81], v[86:87], v[80:81] op_sel:[1,0] op_sel_hi:[0,1]
	v_pk_fma_f32 v[86:87], v[50:51], s[14:15], v[36:37] op_sel_hi:[1,0,1]
	v_pk_add_f32 v[40:41], v[82:83], v[42:43]
	v_pk_fma_f32 v[86:87], v[72:73], s[16:17], v[86:87] op_sel_hi:[1,0,1]
	v_pk_add_f32 v[40:41], v[46:47], v[40:41]
	v_pk_fma_f32 v[86:87], v[82:83], 0.5, v[86:87] op_sel_hi:[1,0,1] neg_lo:[1,0,0] neg_hi:[1,0,0]
	v_pk_add_f32 v[46:47], v[46:47], v[48:49]
	v_pk_add_f32 v[40:41], v[48:49], v[40:41]
	v_pk_fma_f32 v[48:49], v[46:47], s[18:19], v[86:87] op_sel_hi:[1,0,1] neg_lo:[1,0,0] neg_hi:[1,0,0]
	v_pk_add_f32 v[40:41], v[40:41], v[36:37]
	v_pk_add_f32 v[86:87], v[48:49], v[80:81] neg_lo:[0,1] neg_hi:[0,1]
	v_pk_add_f32 v[48:49], v[48:49], v[80:81]
	s_barrier
	v_mov_b32_e32 v48, v86
	v_mov_b32_e32 v87, v49
	ds_write2_b64 v148, v[40:41], v[48:49] offset1:1
	v_pk_mul_f32 v[40:41], v[84:85], s[10:11] op_sel_hi:[1,0]
	v_mov_b32_e32 v48, v78
	v_mov_b32_e32 v49, v39
	s_mov_b32 s10, s11
	v_pk_fma_f32 v[90:91], v[46:47], s[14:15], v[36:37] op_sel_hi:[1,0,1]
	v_mov_b32_e32 v96, v39
	v_mov_b32_e32 v97, v78
	v_pk_fma_f32 v[40:41], v[48:49], s[10:11], v[40:41] op_sel:[0,0,1] op_sel_hi:[1,0,0] neg_lo:[0,0,1] neg_hi:[0,0,1]
	v_mov_b32_e32 v89, v79
	v_pk_fma_f32 v[90:91], v[50:51], s[16:17], v[90:91] op_sel_hi:[1,0,1]
	v_pk_add_f32 v[96:97], v[84:85], v[96:97]
	v_mov_b32_e32 v78, v79
	v_mov_b32_e32 v79, v38
	v_pk_add_f32 v[40:41], v[40:41], v[32:33] op_sel:[0,1] op_sel_hi:[1,0] neg_lo:[0,1] neg_hi:[0,1]
	v_mov_b32_e32 v88, v38
	v_pk_fma_f32 v[90:91], v[82:83], 0.5, v[90:91] op_sel_hi:[1,0,1] neg_lo:[1,0,0] neg_hi:[1,0,0]
	v_pk_add_f32 v[94:95], v[82:83], v[36:37]
	v_pk_add_f32 v[38:39], v[96:97], v[78:79] neg_lo:[0,1] neg_hi:[0,1]
	v_pk_add_f32 v[42:43], v[46:47], v[42:43]
	v_pk_fma_f32 v[40:41], v[88:89], s[12:13], v[40:41] op_sel_hi:[1,0,1]
	v_pk_fma_f32 v[90:91], v[72:73], s[18:19], v[90:91] op_sel_hi:[1,0,1] neg_lo:[1,0,0] neg_hi:[1,0,0]
	v_pk_mul_f32 v[38:39], v[38:39], s[8:9] op_sel_hi:[1,0]
	v_pk_fma_f32 v[42:43], v[42:43], 0.5, v[94:95] op_sel_hi:[1,0,1] neg_lo:[1,0,0] neg_hi:[1,0,0]
	v_pk_add_f32 v[92:93], v[90:91], v[40:41] neg_lo:[0,1] neg_hi:[0,1]
	v_pk_add_f32 v[90:91], v[90:91], v[40:41]
	v_pk_add_f32 v[78:79], v[42:43], v[38:39] op_sel:[0,1] op_sel_hi:[1,0] neg_lo:[0,1] neg_hi:[0,1]
	v_pk_add_f32 v[42:43], v[42:43], v[38:39] op_sel:[0,1] op_sel_hi:[1,0]
	v_mov_b32_e32 v90, v92
	v_mov_b32_e32 v42, v78
	;; [unrolled: 1-line block ×3, first 2 shown]
	ds_write2_b64 v148, v[90:91], v[42:43] offset0:2 offset1:3
	v_pk_fma_f32 v[36:37], v[72:73], s[14:15], v[36:37] op_sel_hi:[1,0,1]
	s_mov_b32 s14, 0xbf248dbb
	v_pk_mul_f32 v[42:43], v[84:85], s[10:11] op_sel_hi:[1,0]
	v_pk_fma_f32 v[36:37], v[46:47], s[16:17], v[36:37] op_sel_hi:[1,0,1]
	v_pk_fma_f32 v[42:43], v[88:89], s[14:15], v[42:43] op_sel:[0,0,1] op_sel_hi:[1,0,0] neg_lo:[0,0,1] neg_hi:[0,0,1]
	v_pk_fma_f32 v[36:37], v[82:83], 0.5, v[36:37] op_sel_hi:[1,0,1] neg_lo:[1,0,0] neg_hi:[1,0,0]
	v_pk_add_f32 v[32:33], v[32:33], v[42:43] op_sel:[1,0] op_sel_hi:[0,1]
	v_pk_fma_f32 v[32:33], v[48:49], s[12:13], v[32:33] op_sel_hi:[1,0,1]
	v_pk_fma_f32 v[36:37], v[50:51], s[18:19], v[36:37] op_sel_hi:[1,0,1] neg_lo:[1,0,0] neg_hi:[1,0,0]
	v_pk_fma_f32 v[46:47], v[38:39], 2.0, v[78:79] op_sel:[1,0,0] op_sel_hi:[0,0,1]
	v_pk_add_f32 v[42:43], v[36:37], v[32:33] neg_lo:[0,1] neg_hi:[0,1]
	v_pk_add_f32 v[36:37], v[36:37], v[32:33]
	v_pk_fma_f32 v[38:39], v[38:39], 2.0, v[78:79] op_sel:[1,0,0] op_sel_hi:[0,0,1] neg_lo:[1,0,0] neg_hi:[1,0,0]
	v_mov_b32_e32 v43, v37
	v_pk_fma_f32 v[36:37], v[32:33], 2.0, v[42:43] op_sel_hi:[1,0,1]
	v_pk_fma_f32 v[32:33], v[32:33], 2.0, v[42:43] op_sel_hi:[1,0,1] neg_lo:[1,0,0] neg_hi:[1,0,0]
	v_mov_b32_e32 v93, v91
	v_mov_b32_e32 v37, v33
	;; [unrolled: 1-line block ×3, first 2 shown]
	ds_write2_b64 v148, v[36:37], v[46:47] offset0:5 offset1:6
	v_pk_fma_f32 v[32:33], v[40:41], 2.0, v[92:93] op_sel_hi:[1,0,1]
	v_pk_fma_f32 v[36:37], v[80:81], 2.0, v[86:87] op_sel_hi:[1,0,1]
	v_pk_fma_f32 v[38:39], v[40:41], 2.0, v[92:93] op_sel_hi:[1,0,1] neg_lo:[1,0,0] neg_hi:[1,0,0]
	v_pk_fma_f32 v[40:41], v[80:81], 2.0, v[86:87] op_sel_hi:[1,0,1] neg_lo:[1,0,0] neg_hi:[1,0,0]
	v_mov_b32_e32 v33, v39
	v_mov_b32_e32 v37, v41
	ds_write_b64 v148, v[42:43] offset:32
	ds_write2_b64 v148, v[32:33], v[36:37] offset0:7 offset1:8
	s_waitcnt lgkmcnt(0)
	s_barrier
	ds_read2_b64 v[38:41], v59 offset0:66 offset1:99
	ds_read2_b64 v[46:49], v59 offset0:198 offset1:231
	;; [unrolled: 1-line block ×3, first 2 shown]
	ds_read2_b64 v[82:85], v59 offset1:33
	s_waitcnt lgkmcnt(3)
	v_mov_b32_e32 v32, v41
	v_pk_mul_f32 v[36:37], v[8:9], v[40:41] op_sel_hi:[1,0]
	s_waitcnt lgkmcnt(1)
	v_pk_mul_f32 v[0:1], v[0:1], v[80:81]
	v_pk_fma_f32 v[32:33], v[8:9], v[32:33], v[36:37] op_sel:[0,0,1] op_sel_hi:[1,1,0] neg_lo:[0,0,1] neg_hi:[0,0,1]
	v_pk_fma_f32 v[8:9], v[8:9], v[40:41], v[36:37] op_sel:[0,1,1] op_sel_hi:[1,1,0]
	v_pk_mul_f32 v[36:37], v[10:11], v[46:47] op_sel_hi:[1,0]
	v_mov_b32_e32 v8, v47
	v_pk_fma_f32 v[40:41], v[10:11], v[8:9], v[36:37] op_sel:[0,0,1] op_sel_hi:[1,1,0] neg_lo:[0,0,1] neg_hi:[0,0,1]
	v_pk_fma_f32 v[10:11], v[10:11], v[46:47], v[36:37] op_sel:[0,1,1] op_sel_hi:[1,1,0]
	v_mov_b32_e32 v50, v9
	v_mov_b32_e32 v51, v32
	;; [unrolled: 1-line block ×6, first 2 shown]
	v_pk_add_f32 v[8:9], v[50:51], v[72:73]
	v_pk_add_f32 v[32:33], v[32:33], v[40:41] neg_lo:[0,1] neg_hi:[0,1]
	s_waitcnt lgkmcnt(0)
	v_pk_fma_f32 v[8:9], v[8:9], 0.5, v[82:83] op_sel_hi:[1,0,1] neg_lo:[1,0,0] neg_hi:[1,0,0]
	v_pk_mul_f32 v[36:37], v[4:5], v[78:79] op_sel_hi:[1,0]
	v_pk_fma_f32 v[10:11], v[32:33], s[8:9], v[8:9] op_sel_hi:[1,0,1]
	v_pk_fma_f32 v[8:9], v[32:33], s[8:9], v[8:9] op_sel_hi:[1,0,1] neg_lo:[1,0,0] neg_hi:[1,0,0]
	v_mov_b32_e32 v32, v79
	v_pk_fma_f32 v[32:33], v[4:5], v[32:33], v[36:37] op_sel:[0,0,1] op_sel_hi:[1,1,0] neg_lo:[0,0,1] neg_hi:[0,0,1]
	v_pk_fma_f32 v[4:5], v[4:5], v[78:79], v[36:37] op_sel:[0,1,1] op_sel_hi:[1,1,0]
	v_pk_mul_f32 v[36:37], v[6:7], v[48:49] op_sel_hi:[1,0]
	v_mov_b32_e32 v4, v49
	v_pk_fma_f32 v[40:41], v[6:7], v[4:5], v[36:37] op_sel:[0,0,1] op_sel_hi:[1,1,0] neg_lo:[0,0,1] neg_hi:[0,0,1]
	v_pk_fma_f32 v[6:7], v[6:7], v[48:49], v[36:37] op_sel:[0,1,1] op_sel_hi:[1,1,0]
	v_mov_b32_e32 v33, v5
	v_mov_b32_e32 v41, v7
	;; [unrolled: 1-line block ×6, first 2 shown]
	v_pk_add_f32 v[36:37], v[4:5], v[6:7]
	v_pk_add_f32 v[4:5], v[84:85], v[4:5]
	v_pk_fma_f32 v[36:37], v[36:37], 0.5, v[84:85] op_sel_hi:[1,0,1] neg_lo:[1,0,0] neg_hi:[1,0,0]
	v_pk_add_f32 v[42:43], v[4:5], v[6:7]
	ds_read_b64 v[6:7], v59 offset:2112
	v_pk_add_f32 v[32:33], v[32:33], v[40:41] neg_lo:[0,1] neg_hi:[0,1]
	s_waitcnt lgkmcnt(0)
	v_pk_fma_f32 v[4:5], v[32:33], s[8:9], v[36:37] op_sel_hi:[1,0,1]
	v_pk_fma_f32 v[36:37], v[32:33], s[8:9], v[36:37] op_sel_hi:[1,0,1] neg_lo:[1,0,0] neg_hi:[1,0,0]
	v_pk_fma_f32 v[32:33], v[74:75], v[80:81], v[0:1] op_sel:[0,0,1] op_sel_hi:[1,1,0]
	v_pk_fma_f32 v[0:1], v[74:75], v[80:81], v[0:1] op_sel:[0,0,1] op_sel_hi:[1,1,0] neg_lo:[0,0,1] neg_hi:[0,0,1]
	s_barrier
	v_mov_b32_e32 v33, v1
	v_pk_mul_f32 v[0:1], v[76:77], v[6:7]
	s_nop 0
	v_pk_fma_f32 v[40:41], v[2:3], v[6:7], v[0:1] op_sel:[0,0,1] op_sel_hi:[1,1,0]
	v_pk_fma_f32 v[0:1], v[2:3], v[6:7], v[0:1] op_sel:[0,0,1] op_sel_hi:[1,1,0] neg_lo:[0,0,1] neg_hi:[0,0,1]
	s_nop 0
	v_mov_b32_e32 v41, v1
	v_pk_add_f32 v[2:3], v[32:33], v[40:41]
	v_pk_add_f32 v[6:7], v[32:33], v[40:41] neg_lo:[0,1] neg_hi:[0,1]
	v_pk_fma_f32 v[2:3], v[2:3], 0.5, v[38:39] op_sel_hi:[1,0,1] neg_lo:[1,0,0] neg_hi:[1,0,0]
	v_pk_mul_f32 v[6:7], v[6:7], s[8:9] op_sel_hi:[1,0]
	v_pk_add_f32 v[0:1], v[38:39], v[32:33]
	v_pk_add_f32 v[46:47], v[6:7], v[2:3] op_sel:[1,0] op_sel_hi:[0,1]
	v_pk_add_f32 v[2:3], v[2:3], v[6:7] op_sel:[0,1] op_sel_hi:[1,0] neg_lo:[0,1] neg_hi:[0,1]
	v_pk_add_f32 v[6:7], v[82:83], v[50:51]
	v_mov_b32_e32 v32, v8
	v_pk_add_f32 v[6:7], v[6:7], v[72:73]
	v_mov_b32_e32 v33, v11
	ds_write2_b64 v149, v[6:7], v[32:33] offset1:9
	v_mov_b32_e32 v32, v10
	v_mov_b32_e32 v33, v9
	ds_write_b64 v149, v[32:33] offset:144
	v_mov_b32_e32 v32, v36
	v_mov_b32_e32 v33, v5
	ds_write2_b64 v150, v[42:43], v[32:33] offset1:9
	v_mov_b32_e32 v32, v4
	v_mov_b32_e32 v33, v37
	v_pk_add_f32 v[0:1], v[0:1], v[40:41]
	ds_write_b64 v150, v[32:33] offset:144
	v_mov_b32_e32 v32, v2
	v_mov_b32_e32 v33, v47
	ds_write2_b64 v151, v[0:1], v[32:33] offset1:9
	v_mov_b32_e32 v32, v46
	v_mov_b32_e32 v33, v3
	ds_write_b64 v151, v[32:33] offset:144
	s_waitcnt lgkmcnt(0)
	s_barrier
	s_and_saveexec_b64 s[8:9], s[0:1]
	s_xor_b64 s[0:1], exec, s[8:9]
	s_andn2_saveexec_b64 s[0:1], s[0:1]
	s_cbranch_execz .LBB0_7
; %bb.6:
	ds_read2_b64 v[6:9], v59 offset1:27
	ds_read2_b64 v[32:35], v59 offset0:216 offset1:243
	ds_read2_b64 v[0:3], v59 offset0:162 offset1:189
	;; [unrolled: 1-line block ×4, first 2 shown]
	ds_read_b64 v[44:45], v59 offset:2160
	s_waitcnt lgkmcnt(4)
	v_mov_b32_e32 v46, v32
	s_waitcnt lgkmcnt(3)
	v_mov_b32_e32 v47, v3
	;; [unrolled: 2-line block ×3, first 2 shown]
	v_mov_b32_e32 v5, v37
	s_waitcnt lgkmcnt(1)
	v_mov_b32_e32 v10, v40
	v_mov_b32_e32 v11, v9
	;; [unrolled: 1-line block ×5, first 2 shown]
.LBB0_7:
	s_or_b64 exec, exec, s[0:1]
	s_and_saveexec_b64 s[0:1], vcc
	s_cbranch_execz .LBB0_9
; %bb.8:
	s_waitcnt lgkmcnt(0)
	v_pk_mul_f32 v[32:33], v[30:31], v[44:45] op_sel:[0,1]
	v_pk_mul_f32 v[38:39], v[12:13], v[10:11] op_sel:[0,1]
	v_pk_mul_f32 v[10:11], v[14:15], v[10:11] op_sel_hi:[1,0]
	v_pk_fma_f32 v[80:81], v[30:31], v[44:45], v[32:33] op_sel:[0,0,1] op_sel_hi:[1,1,0]
	v_pk_fma_f32 v[30:31], v[30:31], v[44:45], v[32:33] op_sel:[0,0,1] op_sel_hi:[1,0,0] neg_lo:[1,0,0] neg_hi:[1,0,0]
	v_pk_mul_f32 v[40:41], v[28:29], v[34:35] op_sel:[0,1]
	v_mov_b32_e32 v81, v31
	v_pk_fma_f32 v[30:31], v[14:15], v[8:9], v[10:11] op_sel:[1,1,0] op_sel_hi:[0,1,1]
	v_pk_fma_f32 v[10:11], v[14:15], v[8:9], v[10:11] op_sel:[1,1,0] op_sel_hi:[0,1,1] neg_lo:[0,0,1] neg_hi:[0,0,1]
	v_pk_mul_f32 v[50:51], v[20:21], v[42:43] op_sel:[0,1]
	v_mov_b32_e32 v31, v11
	;; [unrolled: 4-line block ×7, first 2 shown]
	v_pk_fma_f32 v[2:3], v[16:17], v[4:5], v[78:79] op_sel:[0,0,1] op_sel_hi:[1,1,0]
	v_pk_fma_f32 v[4:5], v[16:17], v[4:5], v[78:79] op_sel:[0,0,1] op_sel_hi:[1,0,0] neg_lo:[1,0,0] neg_hi:[1,0,0]
	s_mov_b32 s20, 0xbf0a6770
	v_mov_b32_e32 v3, v5
	v_pk_fma_f32 v[4:5], v[18:19], v[0:1], v[76:77] op_sel:[0,0,1] op_sel_hi:[1,1,0]
	v_pk_fma_f32 v[0:1], v[18:19], v[0:1], v[76:77] op_sel:[0,0,1] op_sel_hi:[1,0,0] neg_lo:[1,0,0] neg_hi:[1,0,0]
	v_pk_add_f32 v[18:19], v[30:31], v[10:11] neg_lo:[0,1] neg_hi:[0,1]
	v_mov_b32_e32 v5, v1
	v_pk_fma_f32 v[0:1], v[12:13], v[8:9], v[38:39] op_sel:[0,0,1] op_sel_hi:[1,1,0]
	v_pk_fma_f32 v[8:9], v[12:13], v[8:9], v[38:39] op_sel:[0,0,1] op_sel_hi:[1,0,0] neg_lo:[1,0,0] neg_hi:[1,0,0]
	s_mov_b32 s10, 0x3f575c64
	v_mov_b32_e32 v1, v9
	v_pk_add_f32 v[8:9], v[80:81], v[0:1]
	v_pk_add_f32 v[12:13], v[0:1], v[80:81] neg_lo:[0,1] neg_hi:[0,1]
	v_pk_add_f32 v[0:1], v[6:7], v[0:1]
	v_pk_mul_f32 v[40:41], v[12:13], s[20:21] op_sel_hi:[1,0]
	v_pk_add_f32 v[0:1], v[30:31], v[0:1]
	s_mov_b32 s26, 0xbf68dda4
	v_pk_add_f32 v[0:1], v[14:15], v[0:1]
	v_pk_add_f32 v[16:17], v[10:11], v[30:31]
	;; [unrolled: 1-line block ×3, first 2 shown]
	v_pk_fma_f32 v[42:43], v[8:9], s[10:11], v[40:41] op_sel:[0,0,1] op_sel_hi:[1,0,0]
	v_pk_add_f32 v[0:1], v[2:3], v[0:1]
	v_pk_fma_f32 v[40:41], v[8:9], s[10:11], v[40:41] op_sel:[0,0,1] op_sel_hi:[1,0,0] neg_lo:[0,0,1] neg_hi:[0,0,1]
	v_pk_add_f32 v[0:1], v[4:5], v[0:1]
	s_mov_b32 s8, 0x3ed4b147
	v_pk_add_f32 v[0:1], v[22:23], v[0:1]
	v_pk_mul_f32 v[46:47], v[18:19], s[26:27] op_sel_hi:[1,0]
	v_pk_add_f32 v[0:1], v[20:21], v[0:1]
	v_mov_b32_e32 v44, v42
	v_pk_add_f32 v[0:1], v[10:11], v[0:1]
	v_mov_b32_e32 v45, v41
	v_pk_add_f32 v[0:1], v[80:81], v[0:1]
	v_pk_fma_f32 v[48:49], v[16:17], s[8:9], v[46:47] op_sel:[0,0,1] op_sel_hi:[1,0,0]
	v_pk_fma_f32 v[46:47], v[16:17], s[8:9], v[46:47] op_sel:[0,0,1] op_sel_hi:[1,0,0] neg_lo:[0,0,1] neg_hi:[0,0,1]
	s_mov_b32 s18, 0xbf4178ce
	ds_write_b64 v59, v[0:1]
	v_pk_mul_f32 v[0:1], v[12:13], s[26:27] op_sel_hi:[1,0]
	v_pk_add_f32 v[28:29], v[14:15], v[20:21] neg_lo:[0,1] neg_hi:[0,1]
	v_pk_add_f32 v[36:37], v[4:5], v[2:3]
	v_pk_add_f32 v[38:39], v[2:3], v[4:5] neg_lo:[0,1] neg_hi:[0,1]
	v_pk_add_f32 v[44:45], v[6:7], v[44:45]
	v_mov_b32_e32 v50, v48
	v_mov_b32_e32 v51, v47
	s_mov_b32 s14, 0xbf7d64f0
	s_mov_b32 s16, 0xbf27a4f4
	v_pk_fma_f32 v[2:3], v[8:9], s[8:9], v[0:1] op_sel:[0,0,1] op_sel_hi:[1,0,0]
	v_pk_fma_f32 v[0:1], v[8:9], s[8:9], v[0:1] op_sel:[0,0,1] op_sel_hi:[1,0,0] neg_lo:[0,0,1] neg_hi:[0,0,1]
	v_pk_mul_f32 v[10:11], v[18:19], s[18:19] op_sel_hi:[1,0]
	v_pk_add_f32 v[24:25], v[20:21], v[14:15]
	v_pk_add_f32 v[44:45], v[50:51], v[44:45]
	s_mov_b32 s12, 0xbe11bafb
	v_pk_mul_f32 v[50:51], v[28:29], s[14:15] op_sel_hi:[1,0]
	v_mov_b32_e32 v4, v2
	v_mov_b32_e32 v5, v1
	v_pk_fma_f32 v[14:15], v[16:17], s[16:17], v[10:11] op_sel:[0,0,1] op_sel_hi:[1,0,0]
	v_pk_fma_f32 v[10:11], v[16:17], s[16:17], v[10:11] op_sel:[0,0,1] op_sel_hi:[1,0,0] neg_lo:[0,0,1] neg_hi:[0,0,1]
	v_pk_fma_f32 v[72:73], v[24:25], s[12:13], v[50:51] op_sel:[0,0,1] op_sel_hi:[1,0,0]
	v_pk_fma_f32 v[50:51], v[24:25], s[12:13], v[50:51] op_sel:[0,0,1] op_sel_hi:[1,0,0] neg_lo:[0,0,1] neg_hi:[0,0,1]
	v_pk_add_f32 v[4:5], v[6:7], v[4:5]
	v_mov_b32_e32 v20, v14
	v_mov_b32_e32 v21, v11
	s_mov_b32 s26, 0x3e903f40
	v_pk_add_f32 v[34:35], v[26:27], v[22:23] neg_lo:[0,1] neg_hi:[0,1]
	v_mov_b32_e32 v74, v72
	v_mov_b32_e32 v75, v51
	s_mov_b32 s22, 0xbf75a155
	v_pk_add_f32 v[4:5], v[20:21], v[4:5]
	v_pk_mul_f32 v[20:21], v[28:29], s[26:27] op_sel_hi:[1,0]
	v_pk_add_f32 v[32:33], v[22:23], v[26:27]
	v_pk_add_f32 v[44:45], v[74:75], v[44:45]
	v_pk_mul_f32 v[74:75], v[34:35], s[18:19] op_sel_hi:[1,0]
	v_pk_fma_f32 v[22:23], v[24:25], s[22:23], v[20:21] op_sel:[0,0,1] op_sel_hi:[1,0,0]
	v_pk_fma_f32 v[20:21], v[24:25], s[22:23], v[20:21] op_sel:[0,0,1] op_sel_hi:[1,0,0] neg_lo:[0,0,1] neg_hi:[0,0,1]
	v_pk_fma_f32 v[76:77], v[32:33], s[16:17], v[74:75] op_sel:[0,0,1] op_sel_hi:[1,0,0]
	v_pk_fma_f32 v[74:75], v[32:33], s[16:17], v[74:75] op_sel:[0,0,1] op_sel_hi:[1,0,0] neg_lo:[0,0,1] neg_hi:[0,0,1]
	v_mov_b32_e32 v26, v22
	v_mov_b32_e32 v27, v21
	s_mov_b32 s28, 0x3f7d64f0
	v_mov_b32_e32 v78, v76
	v_mov_b32_e32 v79, v75
	s_mov_b32 s24, 0xbe903f40
	v_pk_add_f32 v[4:5], v[26:27], v[4:5]
	v_pk_mul_f32 v[26:27], v[34:35], s[28:29] op_sel_hi:[1,0]
	v_pk_add_f32 v[44:45], v[78:79], v[44:45]
	v_pk_mul_f32 v[78:79], v[38:39], s[24:25] op_sel_hi:[1,0]
	v_pk_fma_f32 v[30:31], v[32:33], s[12:13], v[26:27] op_sel:[0,0,1] op_sel_hi:[1,0,0]
	v_pk_fma_f32 v[26:27], v[32:33], s[12:13], v[26:27] op_sel:[0,0,1] op_sel_hi:[1,0,0] neg_lo:[0,0,1] neg_hi:[0,0,1]
	v_pk_fma_f32 v[82:83], v[36:37], s[22:23], v[78:79] op_sel:[0,0,1] op_sel_hi:[1,0,0]
	v_pk_fma_f32 v[78:79], v[36:37], s[22:23], v[78:79] op_sel:[0,0,1] op_sel_hi:[1,0,0] neg_lo:[0,0,1] neg_hi:[0,0,1]
	v_mov_b32_e32 v80, v30
	v_mov_b32_e32 v81, v27
	s_mov_b32 s30, 0x3f0a6770
	v_mov_b32_e32 v84, v82
	v_mov_b32_e32 v85, v79
	v_pk_add_f32 v[4:5], v[80:81], v[4:5]
	v_pk_mul_f32 v[80:81], v[38:39], s[30:31] op_sel_hi:[1,0]
	v_pk_add_f32 v[44:45], v[84:85], v[44:45]
	v_pk_fma_f32 v[84:85], v[36:37], s[10:11], v[80:81] op_sel:[0,0,1] op_sel_hi:[1,0,0]
	v_pk_fma_f32 v[80:81], v[36:37], s[10:11], v[80:81] op_sel:[0,0,1] op_sel_hi:[1,0,0] neg_lo:[0,0,1] neg_hi:[0,0,1]
	v_mov_b32_e32 v86, v84
	v_mov_b32_e32 v87, v81
	v_lshl_add_u32 v128, v146, 3, v147
	v_pk_add_f32 v[4:5], v[86:87], v[4:5]
	ds_write2_b64 v128, v[44:45], v[4:5] offset0:27 offset1:54
	v_pk_mul_f32 v[4:5], v[12:13], s[14:15] op_sel_hi:[1,0]
	v_pk_mul_f32 v[88:89], v[18:19], s[26:27] op_sel_hi:[1,0]
	v_pk_fma_f32 v[44:45], v[8:9], s[12:13], v[4:5] op_sel:[0,0,1] op_sel_hi:[1,0,0]
	v_pk_fma_f32 v[4:5], v[8:9], s[12:13], v[4:5] op_sel:[0,0,1] op_sel_hi:[1,0,0] neg_lo:[0,0,1] neg_hi:[0,0,1]
	v_mov_b32_e32 v86, v44
	v_mov_b32_e32 v87, v5
	v_pk_fma_f32 v[90:91], v[16:17], s[22:23], v[88:89] op_sel:[0,0,1] op_sel_hi:[1,0,0]
	v_pk_fma_f32 v[88:89], v[16:17], s[22:23], v[88:89] op_sel:[0,0,1] op_sel_hi:[1,0,0] neg_lo:[0,0,1] neg_hi:[0,0,1]
	v_pk_add_f32 v[86:87], v[6:7], v[86:87]
	v_mov_b32_e32 v92, v90
	v_mov_b32_e32 v93, v89
	s_mov_b32 s26, 0x3f68dda4
	v_pk_add_f32 v[86:87], v[92:93], v[86:87]
	v_pk_mul_f32 v[92:93], v[28:29], s[26:27] op_sel_hi:[1,0]
	v_pk_mul_f32 v[110:111], v[18:19], s[28:29] op_sel_hi:[1,0]
	v_pk_fma_f32 v[94:95], v[24:25], s[8:9], v[92:93] op_sel:[0,0,1] op_sel_hi:[1,0,0]
	v_pk_fma_f32 v[92:93], v[24:25], s[8:9], v[92:93] op_sel:[0,0,1] op_sel_hi:[1,0,0] neg_lo:[0,0,1] neg_hi:[0,0,1]
	v_mov_b32_e32 v96, v94
	v_mov_b32_e32 v97, v93
	v_pk_add_f32 v[86:87], v[96:97], v[86:87]
	v_pk_mul_f32 v[96:97], v[34:35], s[20:21] op_sel_hi:[1,0]
	v_pk_fma_f32 v[112:113], v[16:17], s[12:13], v[110:111] op_sel:[0,0,1] op_sel_hi:[1,0,0]
	v_pk_fma_f32 v[98:99], v[32:33], s[10:11], v[96:97] op_sel:[0,0,1] op_sel_hi:[1,0,0]
	v_pk_fma_f32 v[96:97], v[32:33], s[10:11], v[96:97] op_sel:[0,0,1] op_sel_hi:[1,0,0] neg_lo:[0,0,1] neg_hi:[0,0,1]
	v_mov_b32_e32 v100, v98
	v_mov_b32_e32 v101, v97
	v_pk_add_f32 v[86:87], v[100:101], v[86:87]
	v_pk_mul_f32 v[100:101], v[38:39], s[18:19] op_sel_hi:[1,0]
	v_pk_fma_f32 v[110:111], v[16:17], s[12:13], v[110:111] op_sel:[0,0,1] op_sel_hi:[1,0,0] neg_lo:[0,0,1] neg_hi:[0,0,1]
	v_pk_fma_f32 v[102:103], v[36:37], s[16:17], v[100:101] op_sel:[0,0,1] op_sel_hi:[1,0,0]
	v_pk_fma_f32 v[100:101], v[36:37], s[16:17], v[100:101] op_sel:[0,0,1] op_sel_hi:[1,0,0] neg_lo:[0,0,1] neg_hi:[0,0,1]
	v_mov_b32_e32 v104, v102
	v_mov_b32_e32 v105, v101
	v_pk_add_f32 v[86:87], v[104:105], v[86:87]
	v_pk_mul_f32 v[104:105], v[12:13], s[18:19] op_sel_hi:[1,0]
	v_mov_b32_e32 v114, v112
	v_pk_fma_f32 v[106:107], v[8:9], s[16:17], v[104:105] op_sel:[0,0,1] op_sel_hi:[1,0,0]
	v_pk_fma_f32 v[104:105], v[8:9], s[16:17], v[104:105] op_sel:[0,0,1] op_sel_hi:[1,0,0] neg_lo:[0,0,1] neg_hi:[0,0,1]
	v_mov_b32_e32 v108, v106
	v_mov_b32_e32 v109, v105
	v_pk_add_f32 v[108:109], v[6:7], v[108:109]
	v_mov_b32_e32 v115, v111
	v_pk_add_f32 v[108:109], v[114:115], v[108:109]
	v_pk_mul_f32 v[114:115], v[28:29], s[20:21] op_sel_hi:[1,0]
	v_pk_mul_f32 v[12:13], v[12:13], s[24:25] op_sel_hi:[1,0]
	v_pk_fma_f32 v[116:117], v[24:25], s[10:11], v[114:115] op_sel:[0,0,1] op_sel_hi:[1,0,0]
	v_pk_fma_f32 v[114:115], v[24:25], s[10:11], v[114:115] op_sel:[0,0,1] op_sel_hi:[1,0,0] neg_lo:[0,0,1] neg_hi:[0,0,1]
	v_mov_b32_e32 v118, v116
	v_mov_b32_e32 v119, v115
	v_pk_add_f32 v[108:109], v[118:119], v[108:109]
	v_pk_mul_f32 v[118:119], v[34:35], s[24:25] op_sel_hi:[1,0]
	v_pk_mul_f32 v[18:19], v[18:19], s[30:31] op_sel_hi:[1,0]
	v_pk_fma_f32 v[120:121], v[32:33], s[22:23], v[118:119] op_sel:[0,0,1] op_sel_hi:[1,0,0]
	v_pk_fma_f32 v[118:119], v[32:33], s[22:23], v[118:119] op_sel:[0,0,1] op_sel_hi:[1,0,0] neg_lo:[0,0,1] neg_hi:[0,0,1]
	v_mov_b32_e32 v122, v120
	v_mov_b32_e32 v123, v119
	v_pk_add_f32 v[108:109], v[122:123], v[108:109]
	v_pk_mul_f32 v[122:123], v[38:39], s[26:27] op_sel_hi:[1,0]
	v_mov_b32_e32 v105, v107
	v_pk_fma_f32 v[124:125], v[36:37], s[8:9], v[122:123] op_sel:[0,0,1] op_sel_hi:[1,0,0]
	v_pk_fma_f32 v[122:123], v[36:37], s[8:9], v[122:123] op_sel:[0,0,1] op_sel_hi:[1,0,0] neg_lo:[0,0,1] neg_hi:[0,0,1]
	v_mov_b32_e32 v126, v124
	v_mov_b32_e32 v127, v123
	v_pk_add_f32 v[108:109], v[126:127], v[108:109]
	ds_write2_b64 v128, v[86:87], v[108:109] offset0:81 offset1:108
	v_pk_fma_f32 v[86:87], v[8:9], s[22:23], v[12:13] op_sel:[0,0,1] op_sel_hi:[1,0,0]
	v_pk_fma_f32 v[8:9], v[8:9], s[22:23], v[12:13] op_sel:[0,0,1] op_sel_hi:[1,0,0] neg_lo:[0,0,1] neg_hi:[0,0,1]
	v_mov_b32_e32 v12, v86
	v_mov_b32_e32 v13, v9
	v_pk_fma_f32 v[108:109], v[16:17], s[10:11], v[18:19] op_sel:[0,0,1] op_sel_hi:[1,0,0]
	v_pk_fma_f32 v[16:17], v[16:17], s[10:11], v[18:19] op_sel:[0,0,1] op_sel_hi:[1,0,0] neg_lo:[0,0,1] neg_hi:[0,0,1]
	v_pk_add_f32 v[12:13], v[6:7], v[12:13]
	v_mov_b32_e32 v18, v108
	v_mov_b32_e32 v19, v17
	v_pk_add_f32 v[12:13], v[18:19], v[12:13]
	v_pk_mul_f32 v[18:19], v[28:29], s[18:19] op_sel_hi:[1,0]
	v_mov_b32_e32 v9, v87
	v_pk_fma_f32 v[28:29], v[24:25], s[16:17], v[18:19] op_sel:[0,0,1] op_sel_hi:[1,0,0]
	v_pk_fma_f32 v[18:19], v[24:25], s[16:17], v[18:19] op_sel:[0,0,1] op_sel_hi:[1,0,0] neg_lo:[0,0,1] neg_hi:[0,0,1]
	v_mov_b32_e32 v24, v28
	v_mov_b32_e32 v25, v19
	v_pk_add_f32 v[12:13], v[24:25], v[12:13]
	v_pk_mul_f32 v[24:25], v[34:35], s[26:27] op_sel_hi:[1,0]
	v_pk_add_f32 v[8:9], v[6:7], v[8:9]
	v_pk_fma_f32 v[34:35], v[32:33], s[8:9], v[24:25] op_sel:[0,0,1] op_sel_hi:[1,0,0]
	v_pk_fma_f32 v[24:25], v[32:33], s[8:9], v[24:25] op_sel:[0,0,1] op_sel_hi:[1,0,0] neg_lo:[0,0,1] neg_hi:[0,0,1]
	v_mov_b32_e32 v32, v34
	v_mov_b32_e32 v33, v25
	;; [unrolled: 1-line block ×3, first 2 shown]
	v_pk_add_f32 v[12:13], v[32:33], v[12:13]
	v_pk_mul_f32 v[32:33], v[38:39], s[14:15] op_sel_hi:[1,0]
	v_pk_add_f32 v[8:9], v[16:17], v[8:9]
	v_mov_b32_e32 v19, v29
	v_pk_fma_f32 v[38:39], v[36:37], s[12:13], v[32:33] op_sel:[0,0,1] op_sel_hi:[1,0,0]
	v_pk_fma_f32 v[32:33], v[36:37], s[12:13], v[32:33] op_sel:[0,0,1] op_sel_hi:[1,0,0] neg_lo:[0,0,1] neg_hi:[0,0,1]
	v_pk_add_f32 v[8:9], v[18:19], v[8:9]
	v_mov_b32_e32 v25, v35
	v_mov_b32_e32 v36, v38
	;; [unrolled: 1-line block ×3, first 2 shown]
	v_pk_add_f32 v[8:9], v[24:25], v[8:9]
	v_mov_b32_e32 v33, v39
	v_pk_add_f32 v[12:13], v[36:37], v[12:13]
	v_pk_add_f32 v[8:9], v[32:33], v[8:9]
	v_mov_b32_e32 v5, v45
	ds_write2_b64 v128, v[12:13], v[8:9] offset0:135 offset1:162
	v_pk_add_f32 v[8:9], v[6:7], v[104:105]
	v_mov_b32_e32 v111, v113
	v_pk_add_f32 v[4:5], v[6:7], v[4:5]
	v_mov_b32_e32 v89, v91
	v_mov_b32_e32 v1, v3
	v_mov_b32_e32 v41, v43
	v_pk_add_f32 v[8:9], v[110:111], v[8:9]
	v_mov_b32_e32 v115, v117
	v_pk_add_f32 v[4:5], v[88:89], v[4:5]
	v_mov_b32_e32 v93, v95
	;; [unrolled: 2-line block ×12, first 2 shown]
	v_pk_add_f32 v[8:9], v[122:123], v[8:9]
	v_pk_add_f32 v[4:5], v[100:101], v[4:5]
	v_pk_add_f32 v[0:1], v[26:27], v[0:1]
	v_mov_b32_e32 v81, v85
	v_pk_add_f32 v[2:3], v[74:75], v[2:3]
	v_mov_b32_e32 v79, v83
	ds_write2_b64 v128, v[8:9], v[4:5] offset0:189 offset1:216
	v_pk_add_f32 v[0:1], v[80:81], v[0:1]
	v_pk_add_f32 v[2:3], v[78:79], v[2:3]
	v_add_u32_e32 v4, 0x400, v128
	ds_write2_b64 v4, v[0:1], v[2:3] offset0:115 offset1:142
.LBB0_9:
	s_or_b64 exec, exec, s[0:1]
	s_waitcnt lgkmcnt(0)
	s_barrier
	ds_read2_b64 v[0:3], v59 offset1:33
	v_mad_u64_u32 v[6:7], s[0:1], s6, v58, 0
	v_mov_b32_e32 v8, v7
	v_mad_u64_u32 v[8:9], s[0:1], s7, v58, v[8:9]
	v_mov_b32_e32 v7, v8
	s_waitcnt lgkmcnt(0)
	v_mul_f32_e32 v8, v71, v1
	v_fmac_f32_e32 v8, v70, v0
	v_mul_f32_e32 v0, v71, v0
	s_mov_b32 s0, 0x2b18ff23
	v_fma_f32 v0, v70, v1, -v0
	v_cvt_f64_f32_e32 v[8:9], v8
	s_mov_b32 s1, 0x3f6b951e
	v_cvt_f64_f32_e32 v[0:1], v0
	v_mul_f64 v[8:9], v[8:9], s[0:1]
	v_mul_f64 v[0:1], v[0:1], s[0:1]
	v_mov_b32_e32 v4, s2
	v_mov_b32_e32 v5, s3
	v_cvt_f32_f64_e32 v8, v[8:9]
	v_cvt_f32_f64_e32 v9, v[0:1]
	v_mad_u64_u32 v[0:1], s[2:3], s4, v146, 0
	v_mov_b32_e32 v10, v1
	v_mad_u64_u32 v[10:11], s[2:3], s5, v146, v[10:11]
	v_mov_b32_e32 v1, v10
	v_lshl_add_u64 v[4:5], v[6:7], 3, v[4:5]
	v_lshl_add_u64 v[4:5], v[0:1], 3, v[4:5]
	v_mul_f32_e32 v0, v69, v3
	v_fmac_f32_e32 v0, v68, v2
	v_cvt_f64_f32_e32 v[0:1], v0
	v_mul_f64 v[0:1], v[0:1], s[0:1]
	v_cvt_f32_f64_e32 v6, v[0:1]
	v_mul_f32_e32 v0, v69, v2
	v_fma_f32 v0, v68, v3, -v0
	v_cvt_f64_f32_e32 v[0:1], v0
	v_mul_f64 v[0:1], v[0:1], s[0:1]
	v_cvt_f32_f64_e32 v7, v[0:1]
	ds_read2_b64 v[0:3], v59 offset0:66 offset1:99
	global_store_dwordx2 v[4:5], v[8:9], off
	v_mov_b32_e32 v8, 0x108
	v_mad_u64_u32 v[4:5], s[2:3], s4, v8, v[4:5]
	s_mulk_i32 s5, 0x108
	v_add_u32_e32 v5, s5, v5
	global_store_dwordx2 v[4:5], v[6:7], off
	s_waitcnt lgkmcnt(0)
	v_mul_f32_e32 v6, v67, v1
	v_fmac_f32_e32 v6, v66, v0
	v_mul_f32_e32 v0, v67, v0
	v_fma_f32 v0, v66, v1, -v0
	v_cvt_f64_f32_e32 v[6:7], v6
	v_cvt_f64_f32_e32 v[0:1], v0
	v_mul_f64 v[6:7], v[6:7], s[0:1]
	v_mul_f64 v[0:1], v[0:1], s[0:1]
	v_cvt_f32_f64_e32 v6, v[6:7]
	v_cvt_f32_f64_e32 v7, v[0:1]
	v_mul_f32_e32 v0, v63, v3
	v_fmac_f32_e32 v0, v62, v2
	v_mad_u64_u32 v[4:5], s[2:3], s4, v8, v[4:5]
	v_cvt_f64_f32_e32 v[0:1], v0
	v_add_u32_e32 v5, s5, v5
	v_mul_f64 v[0:1], v[0:1], s[0:1]
	global_store_dwordx2 v[4:5], v[6:7], off
	v_cvt_f32_f64_e32 v6, v[0:1]
	v_mul_f32_e32 v0, v63, v2
	v_fma_f32 v0, v62, v3, -v0
	v_cvt_f64_f32_e32 v[0:1], v0
	v_mul_f64 v[0:1], v[0:1], s[0:1]
	v_cvt_f32_f64_e32 v7, v[0:1]
	ds_read2_b64 v[0:3], v59 offset0:132 offset1:165
	v_mad_u64_u32 v[4:5], s[2:3], s4, v8, v[4:5]
	v_add_u32_e32 v5, s5, v5
	global_store_dwordx2 v[4:5], v[6:7], off
	s_waitcnt lgkmcnt(0)
	v_mul_f32_e32 v6, v65, v1
	v_fmac_f32_e32 v6, v64, v0
	v_mul_f32_e32 v0, v65, v0
	v_fma_f32 v0, v64, v1, -v0
	v_cvt_f64_f32_e32 v[6:7], v6
	v_cvt_f64_f32_e32 v[0:1], v0
	v_mul_f64 v[6:7], v[6:7], s[0:1]
	v_mul_f64 v[0:1], v[0:1], s[0:1]
	v_cvt_f32_f64_e32 v6, v[6:7]
	v_cvt_f32_f64_e32 v7, v[0:1]
	v_mul_f32_e32 v0, v61, v3
	v_fmac_f32_e32 v0, v60, v2
	v_mad_u64_u32 v[4:5], s[2:3], s4, v8, v[4:5]
	v_cvt_f64_f32_e32 v[0:1], v0
	v_add_u32_e32 v5, s5, v5
	v_mul_f64 v[0:1], v[0:1], s[0:1]
	global_store_dwordx2 v[4:5], v[6:7], off
	v_cvt_f32_f64_e32 v6, v[0:1]
	v_mul_f32_e32 v0, v61, v2
	v_fma_f32 v0, v60, v3, -v0
	v_cvt_f64_f32_e32 v[0:1], v0
	v_mul_f64 v[0:1], v[0:1], s[0:1]
	v_cvt_f32_f64_e32 v7, v[0:1]
	ds_read2_b64 v[0:3], v59 offset0:198 offset1:231
	v_mad_u64_u32 v[4:5], s[2:3], s4, v8, v[4:5]
	v_add_u32_e32 v5, s5, v5
	global_store_dwordx2 v[4:5], v[6:7], off
	s_waitcnt lgkmcnt(0)
	v_mul_f32_e32 v6, v57, v1
	v_fmac_f32_e32 v6, v56, v0
	v_mul_f32_e32 v0, v57, v0
	v_fma_f32 v0, v56, v1, -v0
	v_cvt_f64_f32_e32 v[6:7], v6
	v_cvt_f64_f32_e32 v[0:1], v0
	v_mul_f64 v[6:7], v[6:7], s[0:1]
	v_mul_f64 v[0:1], v[0:1], s[0:1]
	v_cvt_f32_f64_e32 v6, v[6:7]
	v_cvt_f32_f64_e32 v7, v[0:1]
	v_mad_u64_u32 v[0:1], s[2:3], s4, v8, v[4:5]
	v_mul_f32_e32 v4, v55, v3
	v_fmac_f32_e32 v4, v54, v2
	v_mul_f32_e32 v2, v55, v2
	v_fma_f32 v2, v54, v3, -v2
	v_cvt_f64_f32_e32 v[4:5], v4
	v_cvt_f64_f32_e32 v[2:3], v2
	v_mul_f64 v[4:5], v[4:5], s[0:1]
	v_mul_f64 v[2:3], v[2:3], s[0:1]
	v_cvt_f32_f64_e32 v4, v[4:5]
	v_cvt_f32_f64_e32 v5, v[2:3]
	ds_read_b64 v[2:3], v59 offset:2112
	v_add_u32_e32 v1, s5, v1
	global_store_dwordx2 v[0:1], v[6:7], off
	v_mad_u64_u32 v[0:1], s[2:3], s4, v8, v[0:1]
	v_add_u32_e32 v1, s5, v1
	global_store_dwordx2 v[0:1], v[4:5], off
	s_waitcnt lgkmcnt(0)
	v_mul_f32_e32 v4, v53, v3
	v_fmac_f32_e32 v4, v52, v2
	v_mul_f32_e32 v2, v53, v2
	v_fma_f32 v2, v52, v3, -v2
	v_cvt_f64_f32_e32 v[4:5], v4
	v_cvt_f64_f32_e32 v[2:3], v2
	v_mul_f64 v[4:5], v[4:5], s[0:1]
	v_mul_f64 v[2:3], v[2:3], s[0:1]
	v_mad_u64_u32 v[0:1], s[0:1], s4, v8, v[0:1]
	v_cvt_f32_f64_e32 v4, v[4:5]
	v_cvt_f32_f64_e32 v5, v[2:3]
	v_add_u32_e32 v1, s5, v1
	global_store_dwordx2 v[0:1], v[4:5], off
.LBB0_10:
	s_endpgm
	.section	.rodata,"a",@progbits
	.p2align	6, 0x0
	.amdhsa_kernel bluestein_single_fwd_len297_dim1_sp_op_CI_CI
		.amdhsa_group_segment_fixed_size 16632
		.amdhsa_private_segment_fixed_size 0
		.amdhsa_kernarg_size 104
		.amdhsa_user_sgpr_count 2
		.amdhsa_user_sgpr_dispatch_ptr 0
		.amdhsa_user_sgpr_queue_ptr 0
		.amdhsa_user_sgpr_kernarg_segment_ptr 1
		.amdhsa_user_sgpr_dispatch_id 0
		.amdhsa_user_sgpr_kernarg_preload_length 0
		.amdhsa_user_sgpr_kernarg_preload_offset 0
		.amdhsa_user_sgpr_private_segment_size 0
		.amdhsa_uses_dynamic_stack 0
		.amdhsa_enable_private_segment 0
		.amdhsa_system_sgpr_workgroup_id_x 1
		.amdhsa_system_sgpr_workgroup_id_y 0
		.amdhsa_system_sgpr_workgroup_id_z 0
		.amdhsa_system_sgpr_workgroup_info 0
		.amdhsa_system_vgpr_workitem_id 0
		.amdhsa_next_free_vgpr 154
		.amdhsa_next_free_sgpr 38
		.amdhsa_accum_offset 156
		.amdhsa_reserve_vcc 1
		.amdhsa_float_round_mode_32 0
		.amdhsa_float_round_mode_16_64 0
		.amdhsa_float_denorm_mode_32 3
		.amdhsa_float_denorm_mode_16_64 3
		.amdhsa_dx10_clamp 1
		.amdhsa_ieee_mode 1
		.amdhsa_fp16_overflow 0
		.amdhsa_tg_split 0
		.amdhsa_exception_fp_ieee_invalid_op 0
		.amdhsa_exception_fp_denorm_src 0
		.amdhsa_exception_fp_ieee_div_zero 0
		.amdhsa_exception_fp_ieee_overflow 0
		.amdhsa_exception_fp_ieee_underflow 0
		.amdhsa_exception_fp_ieee_inexact 0
		.amdhsa_exception_int_div_zero 0
	.end_amdhsa_kernel
	.text
.Lfunc_end0:
	.size	bluestein_single_fwd_len297_dim1_sp_op_CI_CI, .Lfunc_end0-bluestein_single_fwd_len297_dim1_sp_op_CI_CI
                                        ; -- End function
	.section	.AMDGPU.csdata,"",@progbits
; Kernel info:
; codeLenInByte = 9132
; NumSgprs: 44
; NumVgprs: 154
; NumAgprs: 0
; TotalNumVgprs: 154
; ScratchSize: 0
; MemoryBound: 0
; FloatMode: 240
; IeeeMode: 1
; LDSByteSize: 16632 bytes/workgroup (compile time only)
; SGPRBlocks: 5
; VGPRBlocks: 19
; NumSGPRsForWavesPerEU: 44
; NumVGPRsForWavesPerEU: 154
; AccumOffset: 156
; Occupancy: 3
; WaveLimiterHint : 1
; COMPUTE_PGM_RSRC2:SCRATCH_EN: 0
; COMPUTE_PGM_RSRC2:USER_SGPR: 2
; COMPUTE_PGM_RSRC2:TRAP_HANDLER: 0
; COMPUTE_PGM_RSRC2:TGID_X_EN: 1
; COMPUTE_PGM_RSRC2:TGID_Y_EN: 0
; COMPUTE_PGM_RSRC2:TGID_Z_EN: 0
; COMPUTE_PGM_RSRC2:TIDIG_COMP_CNT: 0
; COMPUTE_PGM_RSRC3_GFX90A:ACCUM_OFFSET: 38
; COMPUTE_PGM_RSRC3_GFX90A:TG_SPLIT: 0
	.text
	.p2alignl 6, 3212836864
	.fill 256, 4, 3212836864
	.type	__hip_cuid_c498971b1082cdb7,@object ; @__hip_cuid_c498971b1082cdb7
	.section	.bss,"aw",@nobits
	.globl	__hip_cuid_c498971b1082cdb7
__hip_cuid_c498971b1082cdb7:
	.byte	0                               ; 0x0
	.size	__hip_cuid_c498971b1082cdb7, 1

	.ident	"AMD clang version 19.0.0git (https://github.com/RadeonOpenCompute/llvm-project roc-6.4.0 25133 c7fe45cf4b819c5991fe208aaa96edf142730f1d)"
	.section	".note.GNU-stack","",@progbits
	.addrsig
	.addrsig_sym __hip_cuid_c498971b1082cdb7
	.amdgpu_metadata
---
amdhsa.kernels:
  - .agpr_count:     0
    .args:
      - .actual_access:  read_only
        .address_space:  global
        .offset:         0
        .size:           8
        .value_kind:     global_buffer
      - .actual_access:  read_only
        .address_space:  global
        .offset:         8
        .size:           8
        .value_kind:     global_buffer
      - .actual_access:  read_only
        .address_space:  global
        .offset:         16
        .size:           8
        .value_kind:     global_buffer
      - .actual_access:  read_only
        .address_space:  global
        .offset:         24
        .size:           8
        .value_kind:     global_buffer
      - .actual_access:  read_only
        .address_space:  global
        .offset:         32
        .size:           8
        .value_kind:     global_buffer
      - .offset:         40
        .size:           8
        .value_kind:     by_value
      - .address_space:  global
        .offset:         48
        .size:           8
        .value_kind:     global_buffer
      - .address_space:  global
        .offset:         56
        .size:           8
        .value_kind:     global_buffer
      - .address_space:  global
        .offset:         64
        .size:           8
        .value_kind:     global_buffer
      - .address_space:  global
        .offset:         72
        .size:           8
        .value_kind:     global_buffer
      - .offset:         80
        .size:           4
        .value_kind:     by_value
      - .address_space:  global
        .offset:         88
        .size:           8
        .value_kind:     global_buffer
      - .address_space:  global
        .offset:         96
        .size:           8
        .value_kind:     global_buffer
    .group_segment_fixed_size: 16632
    .kernarg_segment_align: 8
    .kernarg_segment_size: 104
    .language:       OpenCL C
    .language_version:
      - 2
      - 0
    .max_flat_workgroup_size: 231
    .name:           bluestein_single_fwd_len297_dim1_sp_op_CI_CI
    .private_segment_fixed_size: 0
    .sgpr_count:     44
    .sgpr_spill_count: 0
    .symbol:         bluestein_single_fwd_len297_dim1_sp_op_CI_CI.kd
    .uniform_work_group_size: 1
    .uses_dynamic_stack: false
    .vgpr_count:     154
    .vgpr_spill_count: 0
    .wavefront_size: 64
amdhsa.target:   amdgcn-amd-amdhsa--gfx950
amdhsa.version:
  - 1
  - 2
...

	.end_amdgpu_metadata
